;; amdgpu-corpus repo=ROCm/rocFFT kind=compiled arch=gfx906 opt=O3
	.text
	.amdgcn_target "amdgcn-amd-amdhsa--gfx906"
	.amdhsa_code_object_version 6
	.protected	bluestein_single_back_len280_dim1_half_op_CI_CI ; -- Begin function bluestein_single_back_len280_dim1_half_op_CI_CI
	.globl	bluestein_single_back_len280_dim1_half_op_CI_CI
	.p2align	8
	.type	bluestein_single_back_len280_dim1_half_op_CI_CI,@function
bluestein_single_back_len280_dim1_half_op_CI_CI: ; @bluestein_single_back_len280_dim1_half_op_CI_CI
; %bb.0:
	s_load_dwordx4 s[0:3], s[4:5], 0x28
	v_mul_u32_u24_e32 v1, 0x493, v0
	v_add_u32_sdwa v12, s6, v1 dst_sel:DWORD dst_unused:UNUSED_PAD src0_sel:DWORD src1_sel:WORD_1
	v_mov_b32_e32 v13, 0
	s_waitcnt lgkmcnt(0)
	v_cmp_gt_u64_e32 vcc, s[0:1], v[12:13]
	s_and_saveexec_b64 s[0:1], vcc
	s_cbranch_execz .LBB0_23
; %bb.1:
	s_load_dwordx2 s[6:7], s[4:5], 0x0
	s_load_dwordx2 s[12:13], s[4:5], 0x38
	v_mov_b32_e32 v2, 56
	v_mul_lo_u16_sdwa v1, v1, v2 dst_sel:DWORD dst_unused:UNUSED_PAD src0_sel:WORD_1 src1_sel:DWORD
	v_sub_u16_e32 v22, v0, v1
	v_cmp_gt_u16_e32 vcc, 35, v22
	v_lshlrev_b32_e32 v21, 2, v22
	s_and_saveexec_b64 s[8:9], vcc
	s_cbranch_execz .LBB0_3
; %bb.2:
	s_load_dwordx2 s[0:1], s[4:5], 0x18
	s_waitcnt lgkmcnt(0)
	s_load_dwordx4 s[16:19], s[0:1], 0x0
	s_waitcnt lgkmcnt(0)
	v_mad_u64_u32 v[0:1], s[0:1], s18, v12, 0
	v_mad_u64_u32 v[2:3], s[0:1], s16, v22, 0
	;; [unrolled: 1-line block ×4, first 2 shown]
	v_mov_b32_e32 v1, v4
	v_lshlrev_b64 v[0:1], 2, v[0:1]
	v_mov_b32_e32 v3, v5
	v_mov_b32_e32 v6, s3
	v_lshlrev_b64 v[2:3], 2, v[2:3]
	v_add_co_u32_e64 v0, s[0:1], s2, v0
	v_addc_co_u32_e64 v1, s[0:1], v6, v1, s[0:1]
	v_add_co_u32_e64 v0, s[0:1], v0, v2
	v_addc_co_u32_e64 v1, s[0:1], v1, v3, s[0:1]
	s_mul_i32 s0, s17, 0x8c
	s_mul_hi_u32 s1, s16, 0x8c
	s_add_i32 s2, s1, s0
	s_mul_i32 s3, s16, 0x8c
	v_mov_b32_e32 v3, s2
	v_add_co_u32_e64 v2, s[0:1], s3, v0
	v_addc_co_u32_e64 v3, s[0:1], v1, v3, s[0:1]
	global_load_dword v4, v[0:1], off
	global_load_dword v5, v[2:3], off
	global_load_dword v6, v21, s[6:7]
	global_load_dword v7, v21, s[6:7] offset:140
	v_mov_b32_e32 v1, s2
	v_add_co_u32_e64 v0, s[0:1], s3, v2
	v_addc_co_u32_e64 v1, s[0:1], v3, v1, s[0:1]
	global_load_dword v2, v[0:1], off
	global_load_dword v3, v21, s[6:7] offset:280
	v_mov_b32_e32 v8, s2
	v_add_co_u32_e64 v0, s[0:1], s3, v0
	v_addc_co_u32_e64 v1, s[0:1], v1, v8, s[0:1]
	global_load_dword v8, v[0:1], off
	global_load_dword v10, v21, s[6:7] offset:420
	v_mov_b32_e32 v9, s2
	v_add_co_u32_e64 v0, s[0:1], s3, v0
	v_addc_co_u32_e64 v1, s[0:1], v1, v9, s[0:1]
	global_load_dword v9, v[0:1], off
	global_load_dword v11, v21, s[6:7] offset:560
	v_mov_b32_e32 v13, s2
	v_add_co_u32_e64 v0, s[0:1], s3, v0
	v_addc_co_u32_e64 v1, s[0:1], v1, v13, s[0:1]
	global_load_dword v13, v[0:1], off
	global_load_dword v14, v21, s[6:7] offset:700
	global_load_dword v15, v21, s[6:7] offset:840
	v_mov_b32_e32 v16, s2
	v_add_co_u32_e64 v0, s[0:1], s3, v0
	v_addc_co_u32_e64 v1, s[0:1], v1, v16, s[0:1]
	global_load_dword v16, v[0:1], off
	v_mov_b32_e32 v17, s2
	v_add_co_u32_e64 v0, s[0:1], s3, v0
	v_addc_co_u32_e64 v1, s[0:1], v1, v17, s[0:1]
	global_load_dword v17, v[0:1], off
	global_load_dword v18, v21, s[6:7] offset:980
	s_waitcnt vmcnt(15)
	v_lshrrev_b32_e32 v0, 16, v4
	s_waitcnt vmcnt(14)
	v_lshrrev_b32_e32 v19, 16, v5
	s_waitcnt vmcnt(13)
	v_mul_f16_sdwa v1, v6, v4 dst_sel:DWORD dst_unused:UNUSED_PAD src0_sel:WORD_1 src1_sel:DWORD
	v_fma_f16 v1, v6, v0, -v1
	v_mul_f16_sdwa v0, v6, v0 dst_sel:DWORD dst_unused:UNUSED_PAD src0_sel:WORD_1 src1_sel:DWORD
	s_waitcnt vmcnt(12)
	v_mul_f16_sdwa v20, v7, v5 dst_sel:DWORD dst_unused:UNUSED_PAD src0_sel:WORD_1 src1_sel:DWORD
	v_fma_f16 v0, v6, v4, v0
	v_fma_f16 v4, v7, v19, -v20
	v_mul_f16_sdwa v6, v7, v19 dst_sel:DWORD dst_unused:UNUSED_PAD src0_sel:WORD_1 src1_sel:DWORD
	s_waitcnt vmcnt(11)
	v_lshrrev_b32_e32 v19, 16, v2
	s_waitcnt vmcnt(10)
	v_mul_f16_sdwa v20, v3, v2 dst_sel:DWORD dst_unused:UNUSED_PAD src0_sel:WORD_1 src1_sel:DWORD
	v_fma_f16 v5, v7, v5, v6
	v_fma_f16 v6, v3, v19, -v20
	v_mul_f16_sdwa v7, v3, v19 dst_sel:DWORD dst_unused:UNUSED_PAD src0_sel:WORD_1 src1_sel:DWORD
	v_pack_b32_f16 v0, v0, v1
	s_waitcnt vmcnt(9)
	v_lshrrev_b32_e32 v1, 16, v8
	s_waitcnt vmcnt(8)
	v_mul_f16_sdwa v19, v10, v8 dst_sel:DWORD dst_unused:UNUSED_PAD src0_sel:WORD_1 src1_sel:DWORD
	v_fma_f16 v2, v3, v2, v7
	v_pack_b32_f16 v3, v5, v4
	v_fma_f16 v4, v10, v1, -v19
	v_mul_f16_sdwa v1, v10, v1 dst_sel:DWORD dst_unused:UNUSED_PAD src0_sel:WORD_1 src1_sel:DWORD
	s_waitcnt vmcnt(7)
	v_lshrrev_b32_e32 v5, 16, v9
	v_fma_f16 v1, v10, v8, v1
	s_waitcnt vmcnt(6)
	v_mul_f16_sdwa v7, v11, v9 dst_sel:DWORD dst_unused:UNUSED_PAD src0_sel:WORD_1 src1_sel:DWORD
	ds_write2_b32 v21, v0, v3 offset1:35
	v_pack_b32_f16 v0, v2, v6
	v_mul_f16_sdwa v2, v11, v5 dst_sel:DWORD dst_unused:UNUSED_PAD src0_sel:WORD_1 src1_sel:DWORD
	v_pack_b32_f16 v1, v1, v4
	v_fma_f16 v3, v11, v5, -v7
	v_fma_f16 v2, v11, v9, v2
	ds_write2_b32 v21, v0, v1 offset0:70 offset1:105
	s_waitcnt vmcnt(5)
	v_lshrrev_b32_e32 v1, 16, v13
	v_pack_b32_f16 v0, v2, v3
	s_waitcnt vmcnt(4)
	v_mul_f16_sdwa v2, v14, v1 dst_sel:DWORD dst_unused:UNUSED_PAD src0_sel:WORD_1 src1_sel:DWORD
	v_mul_f16_sdwa v3, v14, v13 dst_sel:DWORD dst_unused:UNUSED_PAD src0_sel:WORD_1 src1_sel:DWORD
	v_fma_f16 v2, v14, v13, v2
	v_fma_f16 v1, v14, v1, -v3
	v_pack_b32_f16 v1, v2, v1
	ds_write2_b32 v21, v0, v1 offset0:140 offset1:175
	s_waitcnt vmcnt(2)
	v_lshrrev_b32_e32 v0, 16, v16
	v_mul_f16_sdwa v1, v15, v0 dst_sel:DWORD dst_unused:UNUSED_PAD src0_sel:WORD_1 src1_sel:DWORD
	v_mul_f16_sdwa v2, v15, v16 dst_sel:DWORD dst_unused:UNUSED_PAD src0_sel:WORD_1 src1_sel:DWORD
	v_fma_f16 v1, v15, v16, v1
	v_fma_f16 v0, v15, v0, -v2
	v_pack_b32_f16 v0, v1, v0
	s_waitcnt vmcnt(1)
	v_lshrrev_b32_e32 v1, 16, v17
	s_waitcnt vmcnt(0)
	v_mul_f16_sdwa v2, v18, v1 dst_sel:DWORD dst_unused:UNUSED_PAD src0_sel:WORD_1 src1_sel:DWORD
	v_mul_f16_sdwa v3, v18, v17 dst_sel:DWORD dst_unused:UNUSED_PAD src0_sel:WORD_1 src1_sel:DWORD
	v_fma_f16 v2, v18, v17, v2
	v_fma_f16 v1, v18, v1, -v3
	v_pack_b32_f16 v1, v2, v1
	ds_write2_b32 v21, v0, v1 offset0:210 offset1:245
.LBB0_3:
	s_or_b64 exec, exec, s[8:9]
	s_waitcnt lgkmcnt(0)
	; wave barrier
	s_waitcnt lgkmcnt(0)
                                        ; implicit-def: $vgpr0
                                        ; implicit-def: $vgpr4
                                        ; implicit-def: $vgpr2
                                        ; implicit-def: $vgpr6
	s_and_saveexec_b64 s[0:1], vcc
	s_cbranch_execz .LBB0_5
; %bb.4:
	ds_read2_b32 v[0:1], v21 offset1:35
	ds_read2_b32 v[2:3], v21 offset0:70 offset1:105
	ds_read2_b32 v[4:5], v21 offset0:140 offset1:175
	;; [unrolled: 1-line block ×3, first 2 shown]
.LBB0_5:
	s_or_b64 exec, exec, s[0:1]
	s_waitcnt lgkmcnt(0)
	v_pk_add_f16 v4, v0, v4 neg_lo:[0,1] neg_hi:[0,1]
	v_pk_add_f16 v6, v2, v6 neg_lo:[0,1] neg_hi:[0,1]
	;; [unrolled: 1-line block ×4, first 2 shown]
	v_sub_f16_sdwa v8, v4, v6 dst_sel:DWORD dst_unused:UNUSED_PAD src0_sel:DWORD src1_sel:WORD_1
	v_lshrrev_b32_e32 v9, 16, v4
	v_sub_f16_sdwa v15, v5, v7 dst_sel:DWORD dst_unused:UNUSED_PAD src0_sel:DWORD src1_sel:WORD_1
	v_lshrrev_b32_e32 v13, 16, v5
	v_add_f16_e32 v10, v6, v9
	v_fma_f16 v11, v4, 2.0, -v8
	v_add_f16_e32 v14, v7, v13
	v_fma_f16 v16, v5, 2.0, -v15
	v_pk_fma_f16 v0, v0, 2.0, v4 op_sel_hi:[1,0,1] neg_lo:[0,0,1] neg_hi:[0,0,1]
	v_pk_fma_f16 v2, v2, 2.0, v6 op_sel_hi:[1,0,1] neg_lo:[0,0,1] neg_hi:[0,0,1]
	;; [unrolled: 1-line block ×4, first 2 shown]
	s_mov_b32 s0, 0xb9a8
	v_fma_f16 v9, v9, 2.0, -v10
	v_fma_f16 v13, v13, 2.0, -v14
	v_pk_add_f16 v2, v0, v2 neg_lo:[0,1] neg_hi:[0,1]
	v_pk_add_f16 v3, v1, v3 neg_lo:[0,1] neg_hi:[0,1]
	v_fma_f16 v4, v16, s0, v11
	s_load_dwordx2 s[2:3], s[4:5], 0x8
	v_fma_f16 v5, v13, s0, v9
	v_fma_f16 v18, v13, s0, v4
	s_movk_i32 s1, 0x39a8
	v_sub_f16_sdwa v13, v2, v3 dst_sel:DWORD dst_unused:UNUSED_PAD src0_sel:DWORD src1_sel:WORD_1
	v_pk_fma_f16 v0, v0, 2.0, v2 op_sel_hi:[1,0,1] neg_lo:[0,0,1] neg_hi:[0,0,1]
	v_lshrrev_b32_e32 v4, 16, v2
	v_fma_f16 v19, v2, 2.0, -v13
	v_fma_f16 v2, v15, s1, v8
	v_pk_fma_f16 v1, v1, 2.0, v3 op_sel_hi:[1,0,1] neg_lo:[0,0,1] neg_hi:[0,0,1]
	v_add_f16_e32 v27, v3, v4
	v_fma_f16 v3, v14, s1, v10
	v_fma_f16 v14, v14, s0, v2
	;; [unrolled: 1-line block ×4, first 2 shown]
	v_fma_f16 v20, v8, 2.0, -v14
	v_pk_add_f16 v8, v0, v1 neg_lo:[0,1] neg_hi:[0,1]
	v_fma_f16 v16, v11, 2.0, -v18
	v_fma_f16 v26, v9, 2.0, -v25
	v_fma_f16 v28, v4, 2.0, -v27
	v_fma_f16 v29, v10, 2.0, -v24
	v_lshlrev_b16_e32 v23, 3, v22
	v_pk_fma_f16 v4, v0, 2.0, v8 op_sel_hi:[1,0,1] neg_lo:[0,0,1] neg_hi:[0,0,1]
	s_waitcnt lgkmcnt(0)
	; wave barrier
	s_waitcnt lgkmcnt(0)
	s_and_saveexec_b64 s[0:1], vcc
	s_cbranch_execz .LBB0_7
; %bb.6:
	s_mov_b32 s8, 0x5040100
	v_perm_b32 v7, v29, v20, s8
	v_perm_b32 v6, v28, v19, s8
	;; [unrolled: 1-line block ×3, first 2 shown]
	v_lshlrev_b32_e32 v0, 2, v23
	v_perm_b32 v11, v24, v14, s8
	v_perm_b32 v10, v27, v13, s8
	v_perm_b32 v9, v25, v18, s8
	ds_write_b128 v0, v[4:7]
	ds_write_b128 v0, v[8:11] offset:16
.LBB0_7:
	s_or_b64 exec, exec, s[0:1]
	s_load_dwordx2 s[4:5], s[4:5], 0x20
	v_cmp_gt_u16_e64 s[0:1], 40, v22
	s_waitcnt lgkmcnt(0)
	; wave barrier
	s_waitcnt lgkmcnt(0)
	s_and_saveexec_b64 s[8:9], s[0:1]
	s_cbranch_execz .LBB0_9
; %bb.8:
	ds_read2_b32 v[15:16], v21 offset1:40
	ds_read2_b32 v[19:20], v21 offset0:80 offset1:120
	ds_read2_b32 v[17:18], v21 offset0:160 offset1:200
	ds_read_b32 v13, v21 offset:960
	s_waitcnt lgkmcnt(3)
	v_lshrrev_b32_e32 v26, 16, v16
	s_waitcnt lgkmcnt(2)
	v_lshrrev_b32_e32 v28, 16, v19
	v_lshrrev_b32_e32 v29, 16, v20
	s_waitcnt lgkmcnt(1)
	v_lshrrev_b32_e32 v25, 16, v18
	s_waitcnt lgkmcnt(0)
	v_lshrrev_b32_e32 v27, 16, v13
	v_mov_b32_e32 v4, v15
	v_mov_b32_e32 v8, v17
.LBB0_9:
	s_or_b64 exec, exec, s[8:9]
	v_and_b32_e32 v11, 7, v22
	v_mul_u32_u24_e32 v0, 6, v11
	v_lshlrev_b32_e32 v5, 2, v0
	global_load_dwordx4 v[0:3], v5, s[2:3]
	global_load_dwordx2 v[9:10], v5, s[2:3] offset:16
	s_movk_i32 s14, 0x3574
	s_mov_b32 s15, 0xb574
	s_mov_b32 s8, 0xbcab
	s_movk_i32 s9, 0x2b26
	s_mov_b32 s11, 0xb9e0
	s_movk_i32 s10, 0x370e
	s_waitcnt lgkmcnt(0)
	; wave barrier
	s_waitcnt vmcnt(1)
	v_mul_f16_sdwa v5, v8, v3 dst_sel:DWORD dst_unused:UNUSED_PAD src0_sel:WORD_1 src1_sel:WORD_1
	v_mul_f16_sdwa v15, v26, v0 dst_sel:DWORD dst_unused:UNUSED_PAD src0_sel:DWORD src1_sel:WORD_1
	v_mul_f16_sdwa v17, v16, v0 dst_sel:DWORD dst_unused:UNUSED_PAD src0_sel:DWORD src1_sel:WORD_1
	;; [unrolled: 1-line block ×5, first 2 shown]
	s_waitcnt vmcnt(0)
	v_mul_f16_sdwa v34, v25, v9 dst_sel:DWORD dst_unused:UNUSED_PAD src0_sel:DWORD src1_sel:WORD_1
	v_mul_f16_sdwa v35, v18, v9 dst_sel:DWORD dst_unused:UNUSED_PAD src0_sel:DWORD src1_sel:WORD_1
	;; [unrolled: 1-line block ×4, first 2 shown]
	v_mul_f16_sdwa v6, v8, v3 dst_sel:DWORD dst_unused:UNUSED_PAD src0_sel:WORD_1 src1_sel:DWORD
	v_mul_f16_sdwa v7, v8, v3 dst_sel:DWORD dst_unused:UNUSED_PAD src0_sel:DWORD src1_sel:WORD_1
	v_mul_f16_sdwa v33, v20, v2 dst_sel:DWORD dst_unused:UNUSED_PAD src0_sel:DWORD src1_sel:WORD_1
	v_mul_f16_e32 v29, v29, v2
	v_fma_f16 v5, v8, v3, -v5
	v_fma_f16 v8, v16, v0, -v15
	;; [unrolled: 1-line block ×5, first 2 shown]
	v_fma_f16 v17, v26, v0, v17
	v_fma_f16 v19, v28, v1, v32
	;; [unrolled: 1-line block ×3, first 2 shown]
	v_fma_f16 v13, v13, v10, -v36
	v_fma_f16 v25, v27, v10, v37
	v_pack_b32_f16 v6, v8, v6
	v_pack_b32_f16 v7, v13, v7
	;; [unrolled: 1-line block ×4, first 2 shown]
	v_add_f16_e32 v28, v17, v25
	v_add_f16_e32 v29, v19, v20
	v_sub_f16_e32 v8, v8, v13
	v_sub_f16_e32 v13, v17, v25
	;; [unrolled: 1-line block ×5, first 2 shown]
	v_pk_add_f16 v19, v6, v7
	v_pk_add_f16 v20, v26, v27
	v_pack_b32_f16 v6, v16, v29
	v_pack_b32_f16 v7, v5, v28
	v_add_f16_e32 v16, v17, v15
	v_pk_add_f16 v31, v6, v7
	v_pk_add_f16 v32, v20, v19
	v_sub_f16_e32 v26, v17, v15
	v_sub_f16_e32 v27, v8, v17
	;; [unrolled: 1-line block ×4, first 2 shown]
	v_add_f16_e32 v17, v16, v8
	v_sub_f16_sdwa v8, v19, v20 dst_sel:DWORD dst_unused:UNUSED_PAD src0_sel:WORD_1 src1_sel:WORD_1
	v_pk_add_f16 v16, v32, v31
	v_sub_f16_e32 v5, v29, v28
	v_mul_f16_e32 v7, 0xb846, v26
	v_mul_f16_e32 v15, 0x3b00, v15
	;; [unrolled: 1-line block ×3, first 2 shown]
	v_sub_f16_e32 v26, v19, v31
	v_sub_f16_sdwa v30, v28, v32 dst_sel:DWORD dst_unused:UNUSED_PAD src0_sel:DWORD src1_sel:WORD_1
	v_add_f16_e32 v28, v8, v25
	v_sub_f16_e32 v25, v8, v25
	v_pk_add_f16 v4, v4, v16
	v_sub_f16_e32 v18, v20, v19
	v_sub_f16_e32 v19, v31, v20
	v_sub_f16_sdwa v20, v32, v29 dst_sel:DWORD dst_unused:UNUSED_PAD src0_sel:WORD_1 src1_sel:DWORD
	v_sub_f16_e32 v8, v13, v8
	v_fma_f16 v33, v27, s14, v7
	v_fma_f16 v36, v27, s15, -v15
	v_add_f16_e32 v28, v28, v13
	v_lshrrev_b32_e32 v13, 16, v16
	v_mul_f16_e32 v26, 0x3a52, v26
	v_mul_f16_e32 v30, 0x3a52, v30
	;; [unrolled: 1-line block ×3, first 2 shown]
	v_lshrrev_b32_e32 v31, 16, v4
	v_fma_f16 v25, v8, s15, -v6
	v_fma_f16 v29, v16, s8, v4
	v_fma_f16 v16, v19, s9, v26
	v_fma_f16 v26, v18, s11, -v26
	v_fma_f16 v34, v20, s9, v30
	v_fma_f16 v35, v5, s11, -v30
	v_fma_f16 v8, v8, s14, v27
	v_fma_f16 v38, v13, s8, v31
	v_add_f16_e32 v30, v16, v29
	v_add_f16_e32 v32, v26, v29
	;; [unrolled: 1-line block ×4, first 2 shown]
	v_fma_f16 v33, v17, s10, v33
	v_fma_f16 v34, v28, s10, v8
	;; [unrolled: 1-line block ×4, first 2 shown]
	v_add_f16_e32 v25, v36, v35
	v_add_f16_e32 v26, v33, v31
	v_lshrrev_b32_e32 v8, 3, v22
	v_sub_f16_e32 v16, v32, v37
	v_sub_f16_e32 v13, v30, v34
	s_and_saveexec_b64 s[8:9], s[0:1]
	s_cbranch_execz .LBB0_11
; %bb.10:
	v_mul_f16_e32 v19, 0x2b26, v19
	v_mul_f16_e32 v20, 0x2b26, v20
	;; [unrolled: 1-line block ×5, first 2 shown]
	v_sub_f16_e32 v7, v15, v7
	v_mul_f16_e32 v28, 0x370e, v28
	v_sub_f16_e32 v5, v5, v20
	v_add_f16_e32 v7, v17, v7
	v_sub_f16_e32 v6, v6, v27
	v_sub_f16_e32 v17, v18, v19
	v_mul_u32_u24_e32 v27, 56, v8
	v_add_f16_e32 v5, v5, v38
	v_add_f16_e32 v6, v28, v6
	;; [unrolled: 1-line block ×3, first 2 shown]
	v_sub_f16_e32 v19, v31, v33
	v_add_f16_e32 v20, v34, v30
	v_or_b32_e32 v27, v27, v11
	v_sub_f16_e32 v15, v5, v7
	v_add_f16_e32 v18, v6, v17
	v_add_f16_e32 v5, v7, v5
	v_sub_f16_e32 v6, v17, v6
	v_sub_f16_e32 v7, v35, v36
	v_add_f16_e32 v17, v37, v32
	v_lshlrev_b32_e32 v27, 2, v27
	v_pack_b32_f16 v19, v20, v19
	ds_write2_b32 v27, v4, v19 offset1:8
	v_pack_b32_f16 v4, v17, v7
	v_pack_b32_f16 v5, v6, v5
	s_mov_b32 s10, 0x5040100
	ds_write2_b32 v27, v4, v5 offset0:16 offset1:24
	v_pack_b32_f16 v4, v18, v15
	v_perm_b32 v5, v25, v16, s10
	ds_write2_b32 v27, v4, v5 offset0:32 offset1:40
	v_perm_b32 v4, v26, v13, s10
	ds_write_b32 v27, v4 offset:192
.LBB0_11:
	s_or_b64 exec, exec, s[8:9]
	v_lshlrev_b32_e32 v4, 4, v22
	s_load_dwordx4 s[8:11], s[4:5], 0x0
	s_waitcnt lgkmcnt(0)
	; wave barrier
	s_waitcnt lgkmcnt(0)
	global_load_dwordx4 v[4:7], v4, s[2:3] offset:192
	ds_read2_b32 v[17:18], v21 offset1:56
	ds_read2_b32 v[19:20], v21 offset0:112 offset1:168
	ds_read_b32 v15, v21 offset:896
	s_movk_i32 s2, 0x3b9c
	s_mov_b32 s5, 0xbb9c
	s_waitcnt lgkmcnt(2)
	v_lshrrev_b32_e32 v28, 16, v18
	s_waitcnt lgkmcnt(1)
	v_lshrrev_b32_e32 v29, 16, v19
	v_lshrrev_b32_e32 v30, 16, v20
	s_waitcnt lgkmcnt(0)
	v_lshrrev_b32_e32 v31, 16, v15
	v_lshrrev_b32_e32 v27, 16, v17
	s_movk_i32 s3, 0x38b4
	s_mov_b32 s14, 0xb8b4
	s_movk_i32 s4, 0x34f2
	s_waitcnt vmcnt(0)
	v_mul_f16_sdwa v32, v28, v4 dst_sel:DWORD dst_unused:UNUSED_PAD src0_sel:DWORD src1_sel:WORD_1
	v_mul_f16_sdwa v33, v18, v4 dst_sel:DWORD dst_unused:UNUSED_PAD src0_sel:DWORD src1_sel:WORD_1
	;; [unrolled: 1-line block ×8, first 2 shown]
	v_fma_f16 v18, v18, v4, -v32
	v_fma_f16 v28, v28, v4, v33
	v_fma_f16 v19, v19, v5, -v34
	v_fma_f16 v29, v29, v5, v35
	;; [unrolled: 2-line block ×4, first 2 shown]
	v_add_f16_e32 v32, v17, v18
	v_add_f16_e32 v33, v19, v20
	v_sub_f16_e32 v36, v18, v19
	v_sub_f16_e32 v37, v15, v20
	v_add_f16_e32 v38, v18, v15
	v_add_f16_e32 v41, v27, v28
	;; [unrolled: 1-line block ×3, first 2 shown]
	v_sub_f16_e32 v34, v28, v31
	v_sub_f16_e32 v35, v29, v30
	;; [unrolled: 1-line block ×7, first 2 shown]
	v_add_f16_e32 v46, v28, v31
	v_sub_f16_e32 v28, v29, v28
	v_sub_f16_e32 v47, v30, v31
	v_add_f16_e32 v19, v32, v19
	v_fma_f16 v32, v33, -0.5, v17
	v_add_f16_e32 v33, v36, v37
	v_fma_f16 v17, v38, -0.5, v17
	;; [unrolled: 2-line block ×3, first 2 shown]
	v_sub_f16_e32 v45, v31, v30
	v_add_f16_e32 v36, v39, v40
	v_fma_f16 v27, v46, -0.5, v27
	v_add_f16_e32 v39, v28, v47
	v_add_f16_e32 v19, v19, v20
	v_fma_f16 v20, v34, s2, v32
	v_fma_f16 v28, v34, s5, v32
	;; [unrolled: 1-line block ×4, first 2 shown]
	v_add_f16_e32 v29, v29, v30
	v_fma_f16 v30, v43, s5, v37
	v_add_f16_e32 v38, v44, v45
	v_fma_f16 v37, v43, s2, v37
	v_fma_f16 v41, v18, s2, v27
	;; [unrolled: 1-line block ×3, first 2 shown]
	v_add_f16_e32 v17, v19, v15
	v_fma_f16 v15, v35, s3, v20
	v_fma_f16 v19, v35, s14, v28
	;; [unrolled: 1-line block ×4, first 2 shown]
	v_add_f16_e32 v27, v29, v31
	v_fma_f16 v29, v18, s14, v30
	v_fma_f16 v30, v18, s3, v37
	;; [unrolled: 1-line block ×12, first 2 shown]
	v_pack_b32_f16 v32, v17, v27
	v_pack_b32_f16 v33, v18, v28
	ds_write2_b32 v21, v32, v33 offset1:56
	v_pack_b32_f16 v32, v19, v30
	v_pack_b32_f16 v33, v20, v29
	ds_write2_b32 v21, v32, v33 offset0:112 offset1:168
	v_pack_b32_f16 v32, v15, v31
	ds_write_b32 v21, v32 offset:896
	s_waitcnt lgkmcnt(0)
	; wave barrier
	s_waitcnt lgkmcnt(0)
	s_and_saveexec_b64 s[2:3], vcc
	s_cbranch_execz .LBB0_13
; %bb.12:
	global_load_dword v32, v21, s[6:7] offset:1120
	s_add_u32 s4, s6, 0x460
	s_addc_u32 s5, s7, 0
	global_load_dword v34, v21, s[4:5] offset:980
	global_load_dword v38, v21, s[4:5] offset:140
	;; [unrolled: 1-line block ×7, first 2 shown]
	ds_read_b32 v33, v21
	ds_read_b32 v35, v21 offset:980
	s_waitcnt lgkmcnt(1)
	v_lshrrev_b32_e32 v36, 16, v33
	s_waitcnt lgkmcnt(0)
	v_lshrrev_b32_e32 v37, 16, v35
	s_waitcnt vmcnt(7)
	v_mul_f16_sdwa v44, v36, v32 dst_sel:DWORD dst_unused:UNUSED_PAD src0_sel:DWORD src1_sel:WORD_1
	v_mul_f16_sdwa v45, v33, v32 dst_sel:DWORD dst_unused:UNUSED_PAD src0_sel:DWORD src1_sel:WORD_1
	v_fma_f16 v33, v33, v32, -v44
	v_fma_f16 v32, v36, v32, v45
	v_pack_b32_f16 v32, v33, v32
	s_waitcnt vmcnt(6)
	v_mul_f16_sdwa v33, v37, v34 dst_sel:DWORD dst_unused:UNUSED_PAD src0_sel:DWORD src1_sel:WORD_1
	ds_write_b32 v21, v32
	v_mul_f16_sdwa v36, v35, v34 dst_sel:DWORD dst_unused:UNUSED_PAD src0_sel:DWORD src1_sel:WORD_1
	v_fma_f16 v44, v35, v34, -v33
	ds_read2_b32 v[32:33], v21 offset0:35 offset1:70
	v_fma_f16 v45, v37, v34, v36
	ds_read2_b32 v[34:35], v21 offset0:105 offset1:140
	ds_read2_b32 v[36:37], v21 offset0:175 offset1:210
	v_pack_b32_f16 v44, v44, v45
	s_waitcnt lgkmcnt(2)
	v_lshrrev_b32_e32 v45, 16, v32
	s_waitcnt vmcnt(5)
	v_mul_f16_sdwa v46, v32, v38 dst_sel:DWORD dst_unused:UNUSED_PAD src0_sel:DWORD src1_sel:WORD_1
	v_lshrrev_b32_e32 v47, 16, v33
	s_waitcnt vmcnt(4)
	v_mul_f16_sdwa v48, v33, v39 dst_sel:DWORD dst_unused:UNUSED_PAD src0_sel:DWORD src1_sel:WORD_1
	s_waitcnt lgkmcnt(1)
	v_lshrrev_b32_e32 v49, 16, v34
	s_waitcnt vmcnt(3)
	v_mul_f16_sdwa v50, v34, v40 dst_sel:DWORD dst_unused:UNUSED_PAD src0_sel:DWORD src1_sel:WORD_1
	v_lshrrev_b32_e32 v51, 16, v35
	s_waitcnt vmcnt(2)
	v_mul_f16_sdwa v52, v35, v41 dst_sel:DWORD dst_unused:UNUSED_PAD src0_sel:DWORD src1_sel:WORD_1
	s_waitcnt lgkmcnt(0)
	v_lshrrev_b32_e32 v53, 16, v36
	s_waitcnt vmcnt(1)
	v_mul_f16_sdwa v54, v36, v42 dst_sel:DWORD dst_unused:UNUSED_PAD src0_sel:DWORD src1_sel:WORD_1
	v_lshrrev_b32_e32 v55, 16, v37
	v_mul_f16_sdwa v57, v45, v38 dst_sel:DWORD dst_unused:UNUSED_PAD src0_sel:DWORD src1_sel:WORD_1
	v_fma_f16 v45, v45, v38, v46
	v_mul_f16_sdwa v46, v47, v39 dst_sel:DWORD dst_unused:UNUSED_PAD src0_sel:DWORD src1_sel:WORD_1
	s_waitcnt vmcnt(0)
	v_mul_f16_sdwa v56, v37, v43 dst_sel:DWORD dst_unused:UNUSED_PAD src0_sel:DWORD src1_sel:WORD_1
	v_fma_f16 v47, v47, v39, v48
	v_mul_f16_sdwa v48, v49, v40 dst_sel:DWORD dst_unused:UNUSED_PAD src0_sel:DWORD src1_sel:WORD_1
	v_fma_f16 v49, v49, v40, v50
	;; [unrolled: 2-line block ×4, first 2 shown]
	v_mul_f16_sdwa v54, v55, v43 dst_sel:DWORD dst_unused:UNUSED_PAD src0_sel:DWORD src1_sel:WORD_1
	v_fma_f16 v32, v32, v38, -v57
	v_fma_f16 v33, v33, v39, -v46
	v_fma_f16 v55, v55, v43, v56
	v_fma_f16 v34, v34, v40, -v48
	v_fma_f16 v35, v35, v41, -v50
	v_fma_f16 v36, v36, v42, -v52
	v_fma_f16 v37, v37, v43, -v54
	v_pack_b32_f16 v32, v32, v45
	v_pack_b32_f16 v33, v33, v47
	;; [unrolled: 1-line block ×6, first 2 shown]
	ds_write2_b32 v21, v32, v33 offset0:35 offset1:70
	ds_write2_b32 v21, v34, v35 offset0:105 offset1:140
	;; [unrolled: 1-line block ×3, first 2 shown]
	ds_write_b32 v21, v44 offset:980
.LBB0_13:
	s_or_b64 exec, exec, s[2:3]
	s_waitcnt lgkmcnt(0)
	; wave barrier
	s_waitcnt lgkmcnt(0)
	s_and_saveexec_b64 s[2:3], vcc
	s_cbranch_execz .LBB0_15
; %bb.14:
	ds_read2_b32 v[17:18], v21 offset1:35
	ds_read2_b32 v[19:20], v21 offset0:70 offset1:105
	ds_read2_b32 v[15:16], v21 offset0:140 offset1:175
	;; [unrolled: 1-line block ×3, first 2 shown]
	s_waitcnt lgkmcnt(3)
	v_lshrrev_b32_e32 v27, 16, v17
	v_lshrrev_b32_e32 v28, 16, v18
	s_waitcnt lgkmcnt(2)
	v_lshrrev_b32_e32 v30, 16, v19
	v_lshrrev_b32_e32 v29, 16, v20
	;; [unrolled: 3-line block ×4, first 2 shown]
.LBB0_15:
	s_or_b64 exec, exec, s[2:3]
	v_sub_f16_e32 v31, v27, v31
	v_sub_f16_e32 v26, v30, v26
	v_sub_f16_e32 v15, v17, v15
	v_fma_f16 v27, v27, 2.0, -v31
	v_sub_f16_e32 v13, v19, v13
	v_fma_f16 v30, v30, 2.0, -v26
	v_sub_f16_e32 v16, v18, v16
	v_sub_f16_e32 v25, v28, v25
	;; [unrolled: 1-line block ×4, first 2 shown]
	v_fma_f16 v17, v17, 2.0, -v15
	v_fma_f16 v19, v19, 2.0, -v13
	;; [unrolled: 1-line block ×6, first 2 shown]
	v_sub_f16_e32 v30, v27, v30
	v_sub_f16_e32 v34, v31, v13
	;; [unrolled: 1-line block ×3, first 2 shown]
	v_fma_f16 v19, v27, 2.0, -v30
	v_fma_f16 v27, v31, 2.0, -v34
	v_sub_f16_e32 v31, v18, v20
	v_sub_f16_e32 v29, v28, v29
	v_fma_f16 v17, v17, 2.0, -v32
	v_add_f16_e32 v33, v26, v15
	v_fma_f16 v13, v18, 2.0, -v31
	v_fma_f16 v18, v28, 2.0, -v29
	v_add_f16_e32 v28, v24, v16
	v_sub_f16_e32 v35, v25, v14
	v_fma_f16 v26, v15, 2.0, -v33
	v_fma_f16 v14, v16, 2.0, -v28
	;; [unrolled: 1-line block ×3, first 2 shown]
	v_sub_f16_e32 v15, v17, v13
	s_mov_b32 s2, 0xb9a8
	v_sub_f16_e32 v20, v19, v18
	v_fma_f16 v13, v17, 2.0, -v15
	v_fma_f16 v17, v14, s2, v26
	v_fma_f16 v18, v16, s2, v27
	s_movk_i32 s3, 0x39a8
	v_fma_f16 v16, v16, s3, v17
	v_fma_f16 v24, v14, s2, v18
	v_fma_f16 v14, v26, 2.0, -v16
	v_fma_f16 v26, v27, 2.0, -v24
	v_add_f16_e32 v27, v29, v32
	v_sub_f16_e32 v29, v30, v31
	v_fma_f16 v18, v28, s3, v33
	v_fma_f16 v31, v35, s3, v34
	v_fma_f16 v25, v30, 2.0, -v29
	v_fma_f16 v30, v35, s3, v18
	v_fma_f16 v31, v28, s2, v31
	v_fma_f16 v19, v19, 2.0, -v20
	v_fma_f16 v17, v32, 2.0, -v27
	;; [unrolled: 1-line block ×4, first 2 shown]
	s_waitcnt lgkmcnt(0)
	; wave barrier
	s_and_saveexec_b64 s[2:3], vcc
	s_cbranch_execz .LBB0_17
; %bb.16:
	s_mov_b32 s4, 0x5040100
	v_lshlrev_b32_e32 v23, 2, v23
	v_perm_b32 v35, v28, v18, s4
	v_perm_b32 v34, v25, v17, s4
	;; [unrolled: 1-line block ×4, first 2 shown]
	ds_write_b128 v23, v[32:35]
	v_perm_b32 v33, v31, v30, s4
	v_perm_b32 v32, v29, v27, s4
	;; [unrolled: 1-line block ×4, first 2 shown]
	ds_write_b128 v23, v[30:33] offset:16
.LBB0_17:
	s_or_b64 exec, exec, s[2:3]
	s_waitcnt lgkmcnt(0)
	; wave barrier
	s_waitcnt lgkmcnt(0)
	s_and_saveexec_b64 s[2:3], s[0:1]
	s_cbranch_execz .LBB0_19
; %bb.18:
	ds_read2_b32 v[13:14], v21 offset1:40
	ds_read2_b32 v[17:18], v21 offset0:80 offset1:120
	ds_read2_b32 v[15:16], v21 offset0:160 offset1:200
	ds_read_b32 v27, v21 offset:960
	s_waitcnt lgkmcnt(3)
	v_lshrrev_b32_e32 v19, 16, v13
	v_lshrrev_b32_e32 v26, 16, v14
	s_waitcnt lgkmcnt(2)
	v_lshrrev_b32_e32 v25, 16, v17
	v_lshrrev_b32_e32 v28, 16, v18
	;; [unrolled: 3-line block ×3, first 2 shown]
	s_waitcnt lgkmcnt(0)
	v_lshrrev_b32_e32 v29, 16, v27
.LBB0_19:
	s_or_b64 exec, exec, s[2:3]
	s_waitcnt lgkmcnt(0)
	; wave barrier
	s_and_saveexec_b64 s[2:3], s[0:1]
	s_cbranch_execz .LBB0_21
; %bb.20:
	v_mul_f16_sdwa v37, v9, v24 dst_sel:DWORD dst_unused:UNUSED_PAD src0_sel:WORD_1 src1_sel:DWORD
	v_mul_f16_sdwa v23, v0, v26 dst_sel:DWORD dst_unused:UNUSED_PAD src0_sel:WORD_1 src1_sel:DWORD
	;; [unrolled: 1-line block ×5, first 2 shown]
	v_fma_f16 v37, v9, v16, v37
	v_mul_f16_sdwa v16, v9, v16 dst_sel:DWORD dst_unused:UNUSED_PAD src0_sel:WORD_1 src1_sel:DWORD
	v_fma_f16 v23, v0, v14, v23
	v_fma_f16 v30, v10, v27, v30
	;; [unrolled: 1-line block ×4, first 2 shown]
	v_mul_f16_sdwa v36, v1, v25 dst_sel:DWORD dst_unused:UNUSED_PAD src0_sel:WORD_1 src1_sel:DWORD
	v_mul_f16_sdwa v27, v10, v27 dst_sel:DWORD dst_unused:UNUSED_PAD src0_sel:WORD_1 src1_sel:DWORD
	;; [unrolled: 1-line block ×5, first 2 shown]
	v_fma_f16 v9, v9, v24, -v16
	v_mul_f16_sdwa v16, v1, v17 dst_sel:DWORD dst_unused:UNUSED_PAD src0_sel:WORD_1 src1_sel:DWORD
	v_fma_f16 v36, v1, v17, v36
	v_fma_f16 v10, v10, v29, -v27
	v_fma_f16 v0, v0, v26, -v14
	;; [unrolled: 1-line block ×5, first 2 shown]
	v_sub_f16_e32 v31, v23, v30
	v_sub_f16_e32 v34, v32, v33
	;; [unrolled: 1-line block ×3, first 2 shown]
	v_add_f16_e32 v14, v10, v0
	v_add_f16_e32 v15, v3, v2
	;; [unrolled: 1-line block ×6, first 2 shown]
	v_sub_f16_e32 v0, v0, v10
	v_sub_f16_e32 v2, v3, v2
	;; [unrolled: 1-line block ×5, first 2 shown]
	v_add_f16_e32 v34, v34, v38
	v_sub_f16_e32 v18, v14, v15
	v_add_f16_e32 v24, v16, v14
	v_sub_f16_e32 v26, v23, v25
	;; [unrolled: 2-line block ×3, first 2 shown]
	v_sub_f16_e32 v9, v2, v1
	v_add_f16_e32 v2, v2, v1
	v_add_f16_e32 v34, v34, v31
	v_mul_f16_e32 v18, 0x3a52, v18
	v_sub_f16_e32 v17, v15, v16
	s_movk_i32 s4, 0x2b26
	v_add_f16_e32 v15, v15, v24
	v_mul_f16_e32 v26, 0x3a52, v26
	v_sub_f16_e32 v28, v25, v27
	v_add_f16_e32 v25, v25, v30
	v_add_f16_e32 v2, v2, v0
	v_sub_f16_e32 v31, v38, v31
	v_sub_f16_e32 v0, v1, v0
	v_mul_f16_e32 v39, 0x3846, v39
	s_mov_b32 s0, 0xb574
	v_mul_f16_e32 v20, 0x2b26, v17
	v_fma_f16 v17, v17, s4, v18
	v_add_f16_e32 v19, v19, v15
	s_mov_b32 s5, 0xbcab
	v_mul_f16_e32 v29, 0x2b26, v28
	v_fma_f16 v28, v28, s4, v26
	v_add_f16_e32 v13, v13, v25
	v_mul_f16_e32 v9, 0x3846, v9
	v_mul_f16_e32 v32, 0xbb00, v31
	s_movk_i32 s4, 0x3574
	v_mul_f16_e32 v1, 0xbb00, v0
	v_fma_f16 v40, v35, s0, v39
	v_fma_f16 v15, v15, s5, v19
	;; [unrolled: 1-line block ×4, first 2 shown]
	s_mov_b32 s0, 0xbb00
	v_fma_f16 v32, v35, s4, -v32
	v_sub_f16_e32 v14, v16, v14
	s_mov_b32 s5, 0xb9e0
	v_fma_f16 v1, v3, s4, -v1
	s_movk_i32 s4, 0x39e0
	s_mov_b32 s1, 0xb70e
	v_fma_f16 v16, v14, s5, -v18
	v_sub_f16_e32 v23, v27, v23
	v_fma_f16 v14, v14, s4, -v20
	v_fma_f16 v0, v0, s0, -v9
	v_add_f16_e32 v17, v17, v15
	v_fma_f16 v10, v2, s1, v10
	v_add_f16_e32 v16, v16, v15
	v_fma_f16 v26, v23, s5, -v26
	v_fma_f16 v1, v2, s1, v1
	v_add_f16_e32 v14, v14, v15
	v_fma_f16 v15, v31, s0, -v39
	v_fma_f16 v0, v2, s1, v0
	v_fma_f16 v2, v23, s4, -v29
	v_fma_f16 v32, v34, s1, v32
	v_add_f16_e32 v26, v26, v25
	v_fma_f16 v15, v34, s1, v15
	v_add_f16_e32 v2, v2, v25
	v_mul_u32_u24_e32 v8, 56, v8
	v_sub_f16_e32 v3, v26, v1
	v_sub_f16_e32 v20, v14, v15
	v_add_f16_e32 v9, v0, v2
	v_add_f16_e32 v14, v15, v14
	v_sub_f16_e32 v0, v2, v0
	v_sub_f16_e32 v2, v16, v32
	v_add_f16_e32 v1, v1, v26
	v_or_b32_e32 v8, v8, v11
	v_fma_f16 v40, v34, s1, v40
	v_add_f16_e32 v28, v28, v25
	v_add_f16_e32 v18, v32, v16
	v_lshlrev_b32_e32 v8, 2, v8
	v_pack_b32_f16 v1, v1, v2
	v_pack_b32_f16 v0, v0, v14
	v_add_f16_e32 v24, v40, v17
	v_sub_f16_e32 v30, v28, v10
	v_sub_f16_e32 v15, v17, v40
	v_add_f16_e32 v10, v10, v28
	ds_write2_b32 v8, v1, v0 offset0:16 offset1:24
	v_pack_b32_f16 v0, v9, v20
	v_pack_b32_f16 v1, v3, v18
	;; [unrolled: 1-line block ×4, first 2 shown]
	ds_write2_b32 v8, v0, v1 offset0:32 offset1:40
	v_pack_b32_f16 v0, v30, v24
	ds_write2_b32 v8, v11, v10 offset1:8
	ds_write_b32 v8, v0 offset:192
.LBB0_21:
	s_or_b64 exec, exec, s[2:3]
	s_waitcnt lgkmcnt(0)
	; wave barrier
	s_waitcnt lgkmcnt(0)
	ds_read2_b32 v[0:1], v21 offset1:56
	ds_read2_b32 v[2:3], v21 offset0:112 offset1:168
	ds_read_b32 v8, v21 offset:896
	s_mov_b32 s0, 0xbb9c
	s_movk_i32 s3, 0x3b9c
	s_waitcnt lgkmcnt(2)
	v_lshrrev_b32_e32 v10, 16, v1
	v_mul_f16_sdwa v15, v4, v10 dst_sel:DWORD dst_unused:UNUSED_PAD src0_sel:WORD_1 src1_sel:DWORD
	s_waitcnt lgkmcnt(1)
	v_lshrrev_b32_e32 v11, 16, v2
	v_fma_f16 v15, v4, v1, v15
	v_mul_f16_sdwa v1, v4, v1 dst_sel:DWORD dst_unused:UNUSED_PAD src0_sel:WORD_1 src1_sel:DWORD
	v_fma_f16 v1, v4, v10, -v1
	v_mul_f16_sdwa v4, v5, v11 dst_sel:DWORD dst_unused:UNUSED_PAD src0_sel:WORD_1 src1_sel:DWORD
	v_lshrrev_b32_e32 v13, 16, v3
	v_fma_f16 v4, v5, v2, v4
	v_mul_f16_sdwa v2, v5, v2 dst_sel:DWORD dst_unused:UNUSED_PAD src0_sel:WORD_1 src1_sel:DWORD
	v_fma_f16 v2, v5, v11, -v2
	v_mul_f16_sdwa v5, v6, v13 dst_sel:DWORD dst_unused:UNUSED_PAD src0_sel:WORD_1 src1_sel:DWORD
	s_waitcnt lgkmcnt(0)
	v_lshrrev_b32_e32 v14, 16, v8
	v_fma_f16 v5, v6, v3, v5
	v_mul_f16_sdwa v3, v6, v3 dst_sel:DWORD dst_unused:UNUSED_PAD src0_sel:WORD_1 src1_sel:DWORD
	v_fma_f16 v3, v6, v13, -v3
	v_mul_f16_sdwa v6, v7, v14 dst_sel:DWORD dst_unused:UNUSED_PAD src0_sel:WORD_1 src1_sel:DWORD
	v_fma_f16 v6, v7, v8, v6
	v_mul_f16_sdwa v8, v7, v8 dst_sel:DWORD dst_unused:UNUSED_PAD src0_sel:WORD_1 src1_sel:DWORD
	v_fma_f16 v7, v7, v14, -v8
	v_add_f16_e32 v10, v4, v5
	v_fma_f16 v10, v10, -0.5, v0
	v_sub_f16_e32 v11, v1, v7
	v_fma_f16 v13, v11, s0, v10
	v_sub_f16_e32 v14, v2, v3
	s_mov_b32 s1, 0xb8b4
	v_sub_f16_e32 v16, v15, v4
	v_sub_f16_e32 v17, v6, v5
	v_fma_f16 v10, v11, s3, v10
	s_movk_i32 s4, 0x38b4
	v_fma_f16 v13, v14, s1, v13
	v_add_f16_e32 v16, v16, v17
	s_movk_i32 s2, 0x34f2
	v_fma_f16 v10, v14, s4, v10
	v_add_f16_e32 v8, v0, v15
	v_fma_f16 v13, v16, s2, v13
	v_fma_f16 v10, v16, s2, v10
	v_add_f16_e32 v16, v15, v6
	v_lshrrev_b32_e32 v9, 16, v0
	v_add_f16_e32 v8, v8, v4
	v_fma_f16 v0, v16, -0.5, v0
	v_add_f16_e32 v8, v8, v5
	v_fma_f16 v16, v14, s3, v0
	v_fma_f16 v0, v14, s0, v0
	v_add_f16_e32 v14, v2, v3
	v_add_f16_e32 v8, v8, v6
	v_sub_f16_e32 v17, v4, v15
	v_sub_f16_e32 v18, v5, v6
	v_fma_f16 v14, v14, -0.5, v9
	v_sub_f16_e32 v6, v15, v6
	v_fma_f16 v16, v11, s1, v16
	v_add_f16_e32 v17, v17, v18
	v_fma_f16 v0, v11, s4, v0
	v_fma_f16 v15, v6, s3, v14
	v_sub_f16_e32 v4, v4, v5
	v_fma_f16 v16, v17, s2, v16
	v_fma_f16 v0, v17, s2, v0
	;; [unrolled: 1-line block ×3, first 2 shown]
	v_sub_f16_e32 v15, v1, v2
	v_sub_f16_e32 v17, v7, v3
	v_fma_f16 v14, v6, s0, v14
	v_add_f16_e32 v15, v15, v17
	v_fma_f16 v14, v4, s1, v14
	v_add_f16_e32 v11, v9, v1
	v_fma_f16 v5, v15, s2, v5
	v_fma_f16 v14, v15, s2, v14
	v_add_f16_e32 v15, v1, v7
	v_add_f16_e32 v11, v11, v2
	v_fma_f16 v9, v15, -0.5, v9
	v_add_f16_e32 v11, v11, v3
	v_fma_f16 v15, v4, s0, v9
	v_sub_f16_e32 v1, v2, v1
	v_sub_f16_e32 v2, v3, v7
	v_fma_f16 v3, v4, s3, v9
	v_fma_f16 v15, v6, s4, v15
	v_add_f16_e32 v1, v1, v2
	v_fma_f16 v3, v6, s1, v3
	v_fma_f16 v2, v1, s2, v15
	;; [unrolled: 1-line block ×3, first 2 shown]
	v_add_f16_e32 v11, v11, v7
	v_pack_b32_f16 v2, v16, v2
	v_pack_b32_f16 v0, v0, v1
	v_pack_b32_f16 v3, v8, v11
	v_pack_b32_f16 v4, v13, v5
	ds_write2_b32 v21, v2, v0 offset0:112 offset1:168
	v_pack_b32_f16 v0, v10, v14
	ds_write2_b32 v21, v3, v4 offset1:56
	ds_write_b32 v21, v0 offset:896
	s_waitcnt lgkmcnt(0)
	; wave barrier
	s_waitcnt lgkmcnt(0)
	s_and_b64 exec, exec, vcc
	s_cbranch_execz .LBB0_23
; %bb.22:
	global_load_dword v8, v21, s[6:7]
	global_load_dword v7, v21, s[6:7] offset:140
	ds_read_b32 v15, v21
	v_mad_u64_u32 v[4:5], s[0:1], s10, v12, 0
	v_mad_u64_u32 v[2:3], s[0:1], s8, v22, 0
	v_mov_b32_e32 v6, 0x7c00
	v_mad_u64_u32 v[16:17], s[0:1], s11, v12, v[5:6]
	s_waitcnt lgkmcnt(0)
	v_lshrrev_b32_e32 v5, 16, v15
	v_mad_u64_u32 v[17:18], s[0:1], s9, v22, v[3:4]
	ds_read2_b32 v[0:1], v21 offset0:35 offset1:70
	s_mov_b32 s14, 0x1d41d41d
	s_mov_b32 s15, 0x3f6d41d4
	s_movk_i32 s18, 0x1ff
	global_load_dword v9, v21, s[6:7] offset:280
	global_load_dword v11, v21, s[6:7] offset:420
	;; [unrolled: 1-line block ×4, first 2 shown]
	s_movk_i32 s17, 0xffe
	s_movk_i32 s16, 0x40f
	s_mov_b32 s10, 0x8000
	ds_read_b32 v10, v21 offset:980
	s_waitcnt vmcnt(5)
	v_mul_f16_sdwa v3, v5, v8 dst_sel:DWORD dst_unused:UNUSED_PAD src0_sel:DWORD src1_sel:WORD_1
	v_fma_f16 v3, v15, v8, v3
	v_mul_f16_sdwa v12, v15, v8 dst_sel:DWORD dst_unused:UNUSED_PAD src0_sel:DWORD src1_sel:WORD_1
	v_cvt_f32_f16_e32 v3, v3
	v_fma_f16 v5, v8, v5, -v12
	v_cvt_f32_f16_e32 v8, v5
	v_mov_b32_e32 v5, v16
	v_cvt_f64_f32_e32 v[18:19], v3
	s_waitcnt lgkmcnt(1)
	v_lshrrev_b32_e32 v12, 16, v0
	v_cvt_f64_f32_e32 v[15:16], v8
	s_waitcnt vmcnt(4)
	v_mul_f16_sdwa v3, v12, v7 dst_sel:DWORD dst_unused:UNUSED_PAD src0_sel:DWORD src1_sel:WORD_1
	v_mul_f64 v[18:19], v[18:19], s[14:15]
	v_fma_f16 v3, v0, v7, v3
	v_mul_f64 v[15:16], v[15:16], s[14:15]
	v_cvt_f32_f16_e32 v8, v3
	v_mov_b32_e32 v3, v17
	v_lshlrev_b64 v[4:5], 2, v[4:5]
	v_lshlrev_b64 v[2:3], 2, v[2:3]
	v_cvt_f64_f32_e32 v[22:23], v8
	v_and_or_b32 v8, v19, s18, v18
	v_cmp_ne_u32_e32 vcc, 0, v8
	v_and_or_b32 v15, v16, s18, v15
	v_lshrrev_b32_e32 v17, 8, v19
	v_bfe_u32 v18, v19, 20, 11
	v_cndmask_b32_e64 v8, 0, 1, vcc
	v_cmp_ne_u32_e32 vcc, 0, v15
	v_lshrrev_b32_e32 v20, 8, v16
	v_bfe_u32 v24, v16, 20, 11
	v_sub_u32_e32 v25, 0x3f1, v18
	v_cndmask_b32_e64 v15, 0, 1, vcc
	v_and_or_b32 v8, v17, s17, v8
	v_sub_u32_e32 v26, 0x3f1, v24
	v_med3_i32 v17, v25, 0, 13
	v_and_or_b32 v15, v20, s17, v15
	v_or_b32_e32 v25, 0x1000, v8
	v_add_u32_e32 v18, 0xfffffc10, v18
	v_med3_i32 v20, v26, 0, 13
	v_cmp_ne_u32_e32 vcc, 0, v8
	v_or_b32_e32 v27, 0x1000, v15
	v_lshrrev_b32_e32 v29, v17, v25
	v_add_u32_e32 v24, 0xfffffc10, v24
	v_lshl_or_b32 v26, v18, 12, v8
	v_cndmask_b32_e64 v8, 0, 1, vcc
	v_cmp_ne_u32_e32 vcc, 0, v15
	v_lshrrev_b32_e32 v30, v20, v27
	v_lshlrev_b32_e32 v17, v17, v29
	v_lshl_or_b32 v28, v24, 12, v15
	v_cndmask_b32_e64 v15, 0, 1, vcc
	v_lshlrev_b32_e32 v20, v20, v30
	v_cmp_ne_u32_e32 vcc, v17, v25
	v_cndmask_b32_e64 v17, 0, 1, vcc
	v_cmp_ne_u32_e32 vcc, v20, v27
	v_cndmask_b32_e64 v20, 0, 1, vcc
	v_or_b32_e32 v17, v29, v17
	v_cmp_gt_i32_e32 vcc, 1, v18
	v_cndmask_b32_e32 v17, v26, v17, vcc
	v_or_b32_e32 v20, v30, v20
	v_cmp_gt_i32_e32 vcc, 1, v24
	v_and_b32_e32 v25, 7, v17
	v_cndmask_b32_e32 v20, v28, v20, vcc
	v_cmp_lt_i32_e32 vcc, 5, v25
	v_cmp_eq_u32_e64 s[0:1], 3, v25
	v_lshrrev_b32_e32 v17, 2, v17
	v_and_b32_e32 v26, 7, v20
	s_or_b64 vcc, s[0:1], vcc
	v_cmp_lt_i32_e64 s[2:3], 5, v26
	v_cmp_eq_u32_e64 s[4:5], 3, v26
	v_addc_co_u32_e32 v17, vcc, 0, v17, vcc
	v_lshrrev_b32_e32 v20, 2, v20
	s_or_b64 vcc, s[4:5], s[2:3]
	v_addc_co_u32_e32 v20, vcc, 0, v20, vcc
	v_cmp_gt_i32_e32 vcc, 31, v18
	v_cndmask_b32_e32 v17, v6, v17, vcc
	v_cmp_gt_i32_e32 vcc, 31, v24
	v_lshl_or_b32 v8, v8, 9, v6
	v_cndmask_b32_e32 v20, v6, v20, vcc
	v_cmp_eq_u32_e32 vcc, s16, v18
	v_lshrrev_b32_e32 v19, 16, v19
	v_lshl_or_b32 v15, v15, 9, v6
	v_cndmask_b32_e32 v8, v17, v8, vcc
	v_cmp_eq_u32_e32 vcc, s16, v24
	v_lshrrev_b32_e32 v16, 16, v16
	v_cndmask_b32_e32 v15, v20, v15, vcc
	v_and_or_b32 v8, v19, s10, v8
	v_and_or_b32 v15, v16, s10, v15
	v_and_b32_e32 v8, 0xffff, v8
	v_lshl_or_b32 v8, v15, 16, v8
	v_mul_f64 v[15:16], v[22:23], s[14:15]
	v_mov_b32_e32 v17, s13
	v_add_co_u32_e32 v4, vcc, s12, v4
	v_addc_co_u32_e32 v5, vcc, v17, v5, vcc
	v_add_co_u32_e32 v2, vcc, v4, v2
	v_addc_co_u32_e32 v3, vcc, v5, v3, vcc
	v_and_or_b32 v4, v16, s18, v15
	v_cmp_ne_u32_e32 vcc, 0, v4
	v_cndmask_b32_e64 v4, 0, 1, vcc
	v_lshrrev_b32_e32 v5, 8, v16
	global_store_dword v[2:3], v8, off
	v_and_or_b32 v8, v5, s17, v4
	v_bfe_u32 v5, v16, 20, 11
	v_sub_u32_e32 v15, 0x3f1, v5
	v_or_b32_e32 v4, 0x1000, v8
	v_med3_i32 v15, v15, 0, 13
	v_lshrrev_b32_e32 v17, v15, v4
	v_lshlrev_b32_e32 v15, v15, v17
	v_mul_f16_sdwa v0, v0, v7 dst_sel:DWORD dst_unused:UNUSED_PAD src0_sel:DWORD src1_sel:WORD_1
	v_cmp_ne_u32_e32 vcc, v15, v4
	v_fma_f16 v0, v7, v12, -v0
	v_cndmask_b32_e64 v4, 0, 1, vcc
	v_add_u32_e32 v15, 0xfffffc10, v5
	v_cvt_f32_f16_e32 v0, v0
	v_or_b32_e32 v4, v17, v4
	v_lshl_or_b32 v5, v15, 12, v8
	v_cmp_gt_i32_e32 vcc, 1, v15
	v_cndmask_b32_e32 v4, v5, v4, vcc
	v_and_b32_e32 v5, 7, v4
	v_cmp_lt_i32_e32 vcc, 5, v5
	v_cmp_eq_u32_e64 s[0:1], 3, v5
	v_lshrrev_b32_e32 v7, 2, v4
	v_cvt_f64_f32_e32 v[4:5], v0
	s_or_b64 vcc, s[0:1], vcc
	v_addc_co_u32_e32 v0, vcc, 0, v7, vcc
	v_mul_f64 v[4:5], v[4:5], s[14:15]
	v_cmp_gt_i32_e32 vcc, 31, v15
	v_cndmask_b32_e32 v0, v6, v0, vcc
	v_cmp_ne_u32_e32 vcc, 0, v8
	v_cndmask_b32_e64 v7, 0, 1, vcc
	v_lshl_or_b32 v7, v7, 9, v6
	v_cmp_eq_u32_e32 vcc, s16, v15
	v_cndmask_b32_e32 v0, v0, v7, vcc
	v_and_or_b32 v4, v5, s18, v4
	v_lshrrev_b32_e32 v7, 16, v16
	v_cmp_ne_u32_e32 vcc, 0, v4
	v_and_or_b32 v0, v7, s10, v0
	v_cndmask_b32_e64 v4, 0, 1, vcc
	v_lshrrev_b32_e32 v7, 8, v5
	v_bfe_u32 v8, v5, 20, 11
	v_and_or_b32 v4, v7, s17, v4
	v_sub_u32_e32 v12, 0x3f1, v8
	v_or_b32_e32 v7, 0x1000, v4
	v_med3_i32 v12, v12, 0, 13
	v_lshrrev_b32_e32 v15, v12, v7
	v_lshlrev_b32_e32 v12, v12, v15
	v_cmp_ne_u32_e32 vcc, v12, v7
	v_cndmask_b32_e64 v7, 0, 1, vcc
	v_add_u32_e32 v8, 0xfffffc10, v8
	v_or_b32_e32 v7, v15, v7
	v_lshl_or_b32 v12, v8, 12, v4
	v_cmp_gt_i32_e32 vcc, 1, v8
	v_cndmask_b32_e32 v7, v12, v7, vcc
	v_and_b32_e32 v12, 7, v7
	v_cmp_lt_i32_e32 vcc, 5, v12
	v_cmp_eq_u32_e64 s[0:1], 3, v12
	v_lshrrev_b32_e32 v7, 2, v7
	s_or_b64 vcc, s[0:1], vcc
	v_addc_co_u32_e32 v7, vcc, 0, v7, vcc
	v_cmp_gt_i32_e32 vcc, 31, v8
	v_cndmask_b32_e32 v7, v6, v7, vcc
	v_cmp_ne_u32_e32 vcc, 0, v4
	v_cndmask_b32_e64 v4, 0, 1, vcc
	v_lshl_or_b32 v4, v4, 9, v6
	v_cmp_eq_u32_e32 vcc, s16, v8
	v_cndmask_b32_e32 v4, v7, v4, vcc
	v_lshrrev_b32_e32 v7, 16, v1
	s_waitcnt vmcnt(4)
	v_mul_f16_sdwa v8, v7, v9 dst_sel:DWORD dst_unused:UNUSED_PAD src0_sel:DWORD src1_sel:WORD_1
	v_fma_f16 v8, v1, v9, v8
	v_cvt_f32_f16_e32 v8, v8
	v_lshrrev_b32_e32 v5, 16, v5
	v_and_or_b32 v4, v5, s10, v4
	v_and_b32_e32 v0, 0xffff, v0
	v_lshl_or_b32 v0, v4, 16, v0
	v_cvt_f64_f32_e32 v[4:5], v8
	s_mul_i32 s0, s9, 0x8c
	s_mul_hi_u32 s2, s8, 0x8c
	s_add_i32 s2, s2, s0
	v_mul_f64 v[4:5], v[4:5], s[14:15]
	s_mul_i32 s3, s8, 0x8c
	v_mov_b32_e32 v8, s2
	v_add_co_u32_e32 v2, vcc, s3, v2
	v_addc_co_u32_e32 v3, vcc, v3, v8, vcc
	global_store_dword v[2:3], v0, off
	v_and_or_b32 v0, v5, s18, v4
	v_cmp_ne_u32_e32 vcc, 0, v0
	v_cndmask_b32_e64 v0, 0, 1, vcc
	v_lshrrev_b32_e32 v4, 8, v5
	v_bfe_u32 v8, v5, 20, 11
	v_and_or_b32 v4, v4, s17, v0
	v_sub_u32_e32 v12, 0x3f1, v8
	v_or_b32_e32 v0, 0x1000, v4
	v_med3_i32 v12, v12, 0, 13
	v_lshrrev_b32_e32 v15, v12, v0
	v_mul_f16_sdwa v1, v1, v9 dst_sel:DWORD dst_unused:UNUSED_PAD src0_sel:DWORD src1_sel:WORD_1
	v_lshlrev_b32_e32 v12, v12, v15
	v_fma_f16 v1, v9, v7, -v1
	v_cmp_ne_u32_e32 vcc, v12, v0
	v_cvt_f32_f16_e32 v1, v1
	v_cndmask_b32_e64 v0, 0, 1, vcc
	v_add_u32_e32 v8, 0xfffffc10, v8
	v_or_b32_e32 v0, v15, v0
	v_lshl_or_b32 v12, v8, 12, v4
	v_cmp_gt_i32_e32 vcc, 1, v8
	v_cndmask_b32_e32 v0, v12, v0, vcc
	v_and_b32_e32 v12, 7, v0
	v_lshrrev_b32_e32 v7, 2, v0
	v_cvt_f64_f32_e32 v[0:1], v1
	v_cmp_lt_i32_e32 vcc, 5, v12
	v_cmp_eq_u32_e64 s[0:1], 3, v12
	s_or_b64 vcc, s[0:1], vcc
	v_mul_f64 v[0:1], v[0:1], s[14:15]
	v_addc_co_u32_e32 v7, vcc, 0, v7, vcc
	v_cmp_gt_i32_e32 vcc, 31, v8
	v_cndmask_b32_e32 v7, v6, v7, vcc
	v_cmp_ne_u32_e32 vcc, 0, v4
	v_cndmask_b32_e64 v4, 0, 1, vcc
	v_lshl_or_b32 v4, v4, 9, v6
	v_cmp_eq_u32_e32 vcc, s16, v8
	v_and_or_b32 v0, v1, s18, v0
	v_cndmask_b32_e32 v4, v7, v4, vcc
	v_lshrrev_b32_e32 v5, 16, v5
	v_cmp_ne_u32_e32 vcc, 0, v0
	v_and_or_b32 v9, v5, s10, v4
	v_cndmask_b32_e64 v0, 0, 1, vcc
	v_lshrrev_b32_e32 v4, 8, v1
	v_bfe_u32 v5, v1, 20, 11
	v_and_or_b32 v0, v4, s17, v0
	v_sub_u32_e32 v7, 0x3f1, v5
	v_or_b32_e32 v4, 0x1000, v0
	v_med3_i32 v7, v7, 0, 13
	v_lshrrev_b32_e32 v8, v7, v4
	v_lshlrev_b32_e32 v7, v7, v8
	v_cmp_ne_u32_e32 vcc, v7, v4
	v_cndmask_b32_e64 v4, 0, 1, vcc
	v_add_u32_e32 v7, 0xfffffc10, v5
	v_or_b32_e32 v4, v8, v4
	v_lshl_or_b32 v5, v7, 12, v0
	v_cmp_gt_i32_e32 vcc, 1, v7
	v_cndmask_b32_e32 v4, v5, v4, vcc
	v_and_b32_e32 v5, 7, v4
	v_cmp_lt_i32_e32 vcc, 5, v5
	v_cmp_eq_u32_e64 s[0:1], 3, v5
	v_lshrrev_b32_e32 v4, 2, v4
	s_or_b64 vcc, s[0:1], vcc
	v_addc_co_u32_e32 v8, vcc, 0, v4, vcc
	ds_read2_b32 v[4:5], v21 offset0:105 offset1:140
	v_cmp_gt_i32_e32 vcc, 31, v7
	v_cndmask_b32_e32 v8, v6, v8, vcc
	v_cmp_ne_u32_e32 vcc, 0, v0
	v_cndmask_b32_e64 v0, 0, 1, vcc
	s_waitcnt lgkmcnt(0)
	v_lshrrev_b32_e32 v12, 16, v4
	s_waitcnt vmcnt(4)
	v_mul_f16_sdwa v15, v12, v11 dst_sel:DWORD dst_unused:UNUSED_PAD src0_sel:DWORD src1_sel:WORD_1
	v_fma_f16 v15, v4, v11, v15
	v_cvt_f32_f16_e32 v15, v15
	v_lshl_or_b32 v0, v0, 9, v6
	v_cmp_eq_u32_e32 vcc, s16, v7
	v_cndmask_b32_e32 v0, v8, v0, vcc
	v_cvt_f64_f32_e32 v[7:8], v15
	v_lshrrev_b32_e32 v1, 16, v1
	v_and_or_b32 v15, v1, s10, v0
	v_add_co_u32_e32 v2, vcc, s3, v2
	v_mul_f64 v[0:1], v[7:8], s[14:15]
	v_mov_b32_e32 v8, s2
	v_and_b32_e32 v9, 0xffff, v9
	v_addc_co_u32_e32 v3, vcc, v3, v8, vcc
	v_lshl_or_b32 v7, v15, 16, v9
	global_store_dword v[2:3], v7, off
	v_mul_f16_sdwa v4, v4, v11 dst_sel:DWORD dst_unused:UNUSED_PAD src0_sel:DWORD src1_sel:WORD_1
	v_and_or_b32 v0, v1, s18, v0
	v_cmp_ne_u32_e32 vcc, 0, v0
	v_cndmask_b32_e64 v0, 0, 1, vcc
	v_lshrrev_b32_e32 v7, 8, v1
	v_bfe_u32 v8, v1, 20, 11
	v_and_or_b32 v0, v7, s17, v0
	v_sub_u32_e32 v9, 0x3f1, v8
	v_or_b32_e32 v7, 0x1000, v0
	v_med3_i32 v9, v9, 0, 13
	v_lshrrev_b32_e32 v15, v9, v7
	v_lshlrev_b32_e32 v9, v9, v15
	v_cmp_ne_u32_e32 vcc, v9, v7
	v_fma_f16 v4, v11, v12, -v4
	v_cndmask_b32_e64 v7, 0, 1, vcc
	v_add_u32_e32 v9, 0xfffffc10, v8
	v_cvt_f32_f16_e32 v4, v4
	v_or_b32_e32 v7, v15, v7
	v_lshl_or_b32 v8, v9, 12, v0
	v_cmp_gt_i32_e32 vcc, 1, v9
	v_cndmask_b32_e32 v7, v8, v7, vcc
	v_and_b32_e32 v8, 7, v7
	v_cmp_lt_i32_e32 vcc, 5, v8
	v_cmp_eq_u32_e64 s[0:1], 3, v8
	v_lshrrev_b32_e32 v11, 2, v7
	v_cvt_f64_f32_e32 v[7:8], v4
	s_or_b64 vcc, s[0:1], vcc
	v_addc_co_u32_e32 v4, vcc, 0, v11, vcc
	v_mul_f64 v[7:8], v[7:8], s[14:15]
	v_cmp_gt_i32_e32 vcc, 31, v9
	v_cndmask_b32_e32 v4, v6, v4, vcc
	v_cmp_ne_u32_e32 vcc, 0, v0
	v_cndmask_b32_e64 v0, 0, 1, vcc
	v_lshl_or_b32 v0, v0, 9, v6
	v_cmp_eq_u32_e32 vcc, s16, v9
	v_cndmask_b32_e32 v0, v4, v0, vcc
	v_lshrrev_b32_e32 v1, 16, v1
	v_and_or_b32 v4, v1, s10, v0
	v_and_or_b32 v0, v8, s18, v7
	v_cmp_ne_u32_e32 vcc, 0, v0
	v_cndmask_b32_e64 v0, 0, 1, vcc
	v_lshrrev_b32_e32 v1, 8, v8
	v_bfe_u32 v7, v8, 20, 11
	v_and_or_b32 v0, v1, s17, v0
	v_sub_u32_e32 v9, 0x3f1, v7
	v_or_b32_e32 v1, 0x1000, v0
	v_med3_i32 v9, v9, 0, 13
	v_lshrrev_b32_e32 v11, v9, v1
	v_lshlrev_b32_e32 v9, v9, v11
	v_cmp_ne_u32_e32 vcc, v9, v1
	v_cndmask_b32_e64 v1, 0, 1, vcc
	v_add_u32_e32 v7, 0xfffffc10, v7
	v_or_b32_e32 v1, v11, v1
	v_lshl_or_b32 v9, v7, 12, v0
	v_cmp_gt_i32_e32 vcc, 1, v7
	v_cndmask_b32_e32 v1, v9, v1, vcc
	v_and_b32_e32 v9, 7, v1
	v_cmp_lt_i32_e32 vcc, 5, v9
	v_cmp_eq_u32_e64 s[0:1], 3, v9
	v_lshrrev_b32_e32 v9, 16, v5
	v_lshrrev_b32_e32 v1, 2, v1
	s_or_b64 vcc, s[0:1], vcc
	s_waitcnt vmcnt(4)
	v_mul_f16_sdwa v11, v9, v13 dst_sel:DWORD dst_unused:UNUSED_PAD src0_sel:DWORD src1_sel:WORD_1
	v_addc_co_u32_e32 v1, vcc, 0, v1, vcc
	v_fma_f16 v11, v5, v13, v11
	v_cmp_gt_i32_e32 vcc, 31, v7
	v_cvt_f32_f16_e32 v11, v11
	v_cndmask_b32_e32 v1, v6, v1, vcc
	v_cmp_ne_u32_e32 vcc, 0, v0
	v_cndmask_b32_e64 v0, 0, 1, vcc
	v_lshl_or_b32 v0, v0, 9, v6
	v_cmp_eq_u32_e32 vcc, s16, v7
	v_cndmask_b32_e32 v7, v1, v0, vcc
	v_cvt_f64_f32_e32 v[0:1], v11
	v_lshrrev_b32_e32 v8, 16, v8
	v_and_or_b32 v7, v8, s10, v7
	v_and_b32_e32 v4, 0xffff, v4
	v_mul_f64 v[0:1], v[0:1], s[14:15]
	v_lshl_or_b32 v4, v7, 16, v4
	v_mov_b32_e32 v7, s2
	v_add_co_u32_e32 v2, vcc, s3, v2
	v_addc_co_u32_e32 v3, vcc, v3, v7, vcc
	global_store_dword v[2:3], v4, off
	v_and_or_b32 v0, v1, s18, v0
	v_cmp_ne_u32_e32 vcc, 0, v0
	v_cndmask_b32_e64 v0, 0, 1, vcc
	v_lshrrev_b32_e32 v4, 8, v1
	v_bfe_u32 v7, v1, 20, 11
	v_and_or_b32 v0, v4, s17, v0
	v_sub_u32_e32 v8, 0x3f1, v7
	v_or_b32_e32 v4, 0x1000, v0
	v_med3_i32 v8, v8, 0, 13
	v_lshrrev_b32_e32 v11, v8, v4
	v_lshlrev_b32_e32 v8, v8, v11
	v_mul_f16_sdwa v5, v5, v13 dst_sel:DWORD dst_unused:UNUSED_PAD src0_sel:DWORD src1_sel:WORD_1
	v_cmp_ne_u32_e32 vcc, v8, v4
	v_fma_f16 v5, v13, v9, -v5
	v_cndmask_b32_e64 v4, 0, 1, vcc
	v_add_u32_e32 v7, 0xfffffc10, v7
	v_cvt_f32_f16_e32 v5, v5
	v_or_b32_e32 v4, v11, v4
	v_lshl_or_b32 v8, v7, 12, v0
	v_cmp_gt_i32_e32 vcc, 1, v7
	v_cndmask_b32_e32 v4, v8, v4, vcc
	v_and_b32_e32 v8, 7, v4
	v_cmp_lt_i32_e32 vcc, 5, v8
	v_cmp_eq_u32_e64 s[0:1], 3, v8
	v_lshrrev_b32_e32 v8, 2, v4
	v_cvt_f64_f32_e32 v[4:5], v5
	s_or_b64 vcc, s[0:1], vcc
	v_addc_co_u32_e32 v8, vcc, 0, v8, vcc
	v_mul_f64 v[4:5], v[4:5], s[14:15]
	v_cmp_gt_i32_e32 vcc, 31, v7
	v_cndmask_b32_e32 v8, v6, v8, vcc
	v_cmp_ne_u32_e32 vcc, 0, v0
	v_cndmask_b32_e64 v0, 0, 1, vcc
	v_lshl_or_b32 v0, v0, 9, v6
	v_cmp_eq_u32_e32 vcc, s16, v7
	v_cndmask_b32_e32 v0, v8, v0, vcc
	v_lshrrev_b32_e32 v1, 16, v1
	v_and_or_b32 v7, v1, s10, v0
	v_and_or_b32 v0, v5, s18, v4
	v_cmp_ne_u32_e32 vcc, 0, v0
	v_cndmask_b32_e64 v0, 0, 1, vcc
	v_lshrrev_b32_e32 v1, 8, v5
	v_and_or_b32 v4, v1, s17, v0
	v_bfe_u32 v1, v5, 20, 11
	v_sub_u32_e32 v8, 0x3f1, v1
	v_or_b32_e32 v0, 0x1000, v4
	v_med3_i32 v8, v8, 0, 13
	v_lshrrev_b32_e32 v9, v8, v0
	v_lshlrev_b32_e32 v8, v8, v9
	v_cmp_ne_u32_e32 vcc, v8, v0
	v_cndmask_b32_e64 v0, 0, 1, vcc
	v_add_u32_e32 v8, 0xfffffc10, v1
	v_or_b32_e32 v0, v9, v0
	v_lshl_or_b32 v1, v8, 12, v4
	v_cmp_gt_i32_e32 vcc, 1, v8
	v_cndmask_b32_e32 v0, v1, v0, vcc
	v_and_b32_e32 v1, 7, v0
	v_cmp_lt_i32_e32 vcc, 5, v1
	v_cmp_eq_u32_e64 s[0:1], 3, v1
	v_lshrrev_b32_e32 v0, 2, v0
	s_or_b64 vcc, s[0:1], vcc
	v_addc_co_u32_e32 v9, vcc, 0, v0, vcc
	v_cmp_gt_i32_e32 vcc, 31, v8
	v_cndmask_b32_e32 v9, v6, v9, vcc
	v_cmp_ne_u32_e32 vcc, 0, v4
	v_cndmask_b32_e64 v4, 0, 1, vcc
	ds_read2_b32 v[0:1], v21 offset0:175 offset1:210
	v_lshl_or_b32 v4, v4, 9, v6
	v_cmp_eq_u32_e32 vcc, s16, v8
	v_cndmask_b32_e32 v8, v9, v4, vcc
	v_lshrrev_b32_e32 v9, 16, v5
	v_and_or_b32 v8, v9, s10, v8
	global_load_dword v9, v21, s[6:7] offset:840
	s_waitcnt lgkmcnt(0)
	v_lshrrev_b32_e32 v11, 16, v0
	s_waitcnt vmcnt(5)
	v_mul_f16_sdwa v12, v11, v14 dst_sel:DWORD dst_unused:UNUSED_PAD src0_sel:DWORD src1_sel:WORD_1
	v_fma_f16 v12, v0, v14, v12
	v_cvt_f32_f16_e32 v12, v12
	v_and_b32_e32 v7, 0xffff, v7
	v_lshl_or_b32 v7, v8, 16, v7
	v_mov_b32_e32 v8, s2
	v_cvt_f64_f32_e32 v[4:5], v12
	v_add_co_u32_e32 v2, vcc, s3, v2
	v_addc_co_u32_e32 v3, vcc, v3, v8, vcc
	v_mul_f64 v[4:5], v[4:5], s[14:15]
	global_store_dword v[2:3], v7, off
	v_mul_f16_sdwa v0, v0, v14 dst_sel:DWORD dst_unused:UNUSED_PAD src0_sel:DWORD src1_sel:WORD_1
	v_fma_f16 v0, v14, v11, -v0
	v_cvt_f32_f16_e32 v0, v0
	v_and_or_b32 v4, v5, s18, v4
	v_cmp_ne_u32_e32 vcc, 0, v4
	v_cndmask_b32_e64 v4, 0, 1, vcc
	v_lshrrev_b32_e32 v7, 8, v5
	v_bfe_u32 v8, v5, 20, 11
	v_and_or_b32 v4, v7, s17, v4
	v_sub_u32_e32 v12, 0x3f1, v8
	v_or_b32_e32 v7, 0x1000, v4
	v_med3_i32 v12, v12, 0, 13
	v_lshrrev_b32_e32 v13, v12, v7
	v_lshlrev_b32_e32 v12, v12, v13
	v_cmp_ne_u32_e32 vcc, v12, v7
	v_cndmask_b32_e64 v7, 0, 1, vcc
	v_add_u32_e32 v12, 0xfffffc10, v8
	v_or_b32_e32 v7, v13, v7
	v_lshl_or_b32 v8, v12, 12, v4
	v_cmp_gt_i32_e32 vcc, 1, v12
	v_cndmask_b32_e32 v7, v8, v7, vcc
	v_and_b32_e32 v8, 7, v7
	v_cmp_lt_i32_e32 vcc, 5, v8
	v_cmp_eq_u32_e64 s[0:1], 3, v8
	v_lshrrev_b32_e32 v11, 2, v7
	v_cvt_f64_f32_e32 v[7:8], v0
	s_or_b64 vcc, s[0:1], vcc
	v_addc_co_u32_e32 v0, vcc, 0, v11, vcc
	v_mul_f64 v[7:8], v[7:8], s[14:15]
	v_cmp_gt_i32_e32 vcc, 31, v12
	v_cndmask_b32_e32 v0, v6, v0, vcc
	v_cmp_ne_u32_e32 vcc, 0, v4
	v_cndmask_b32_e64 v4, 0, 1, vcc
	v_lshl_or_b32 v4, v4, 9, v6
	v_cmp_eq_u32_e32 vcc, s16, v12
	v_cndmask_b32_e32 v0, v0, v4, vcc
	v_lshrrev_b32_e32 v4, 16, v5
	v_and_or_b32 v0, v4, s10, v0
	v_and_or_b32 v4, v8, s18, v7
	v_cmp_ne_u32_e32 vcc, 0, v4
	v_cndmask_b32_e64 v4, 0, 1, vcc
	v_lshrrev_b32_e32 v5, 8, v8
	v_bfe_u32 v7, v8, 20, 11
	v_and_or_b32 v4, v5, s17, v4
	v_sub_u32_e32 v11, 0x3f1, v7
	v_or_b32_e32 v5, 0x1000, v4
	v_med3_i32 v11, v11, 0, 13
	v_lshrrev_b32_e32 v12, v11, v5
	v_lshlrev_b32_e32 v11, v11, v12
	v_cmp_ne_u32_e32 vcc, v11, v5
	v_cndmask_b32_e64 v5, 0, 1, vcc
	v_or_b32_e32 v5, v12, v5
	global_load_dword v12, v21, s[6:7] offset:980
	v_add_u32_e32 v7, 0xfffffc10, v7
	v_lshl_or_b32 v11, v7, 12, v4
	v_cmp_gt_i32_e32 vcc, 1, v7
	v_cndmask_b32_e32 v5, v11, v5, vcc
	v_and_b32_e32 v11, 7, v5
	v_cmp_lt_i32_e32 vcc, 5, v11
	v_cmp_eq_u32_e64 s[0:1], 3, v11
	v_lshrrev_b32_e32 v11, 16, v1
	v_lshrrev_b32_e32 v5, 2, v5
	s_or_b64 vcc, s[0:1], vcc
	s_waitcnt vmcnt(2)
	v_mul_f16_sdwa v13, v11, v9 dst_sel:DWORD dst_unused:UNUSED_PAD src0_sel:DWORD src1_sel:WORD_1
	v_addc_co_u32_e32 v5, vcc, 0, v5, vcc
	v_fma_f16 v13, v1, v9, v13
	v_cmp_gt_i32_e32 vcc, 31, v7
	v_cvt_f32_f16_e32 v13, v13
	v_cndmask_b32_e32 v5, v6, v5, vcc
	v_cmp_ne_u32_e32 vcc, 0, v4
	v_cndmask_b32_e64 v4, 0, 1, vcc
	v_lshl_or_b32 v4, v4, 9, v6
	v_cmp_eq_u32_e32 vcc, s16, v7
	v_cndmask_b32_e32 v7, v5, v4, vcc
	v_cvt_f64_f32_e32 v[4:5], v13
	v_lshrrev_b32_e32 v8, 16, v8
	v_and_or_b32 v7, v8, s10, v7
	v_and_b32_e32 v0, 0xffff, v0
	v_mul_f64 v[4:5], v[4:5], s[14:15]
	v_lshl_or_b32 v0, v7, 16, v0
	v_mov_b32_e32 v7, s2
	v_add_co_u32_e32 v2, vcc, s3, v2
	v_addc_co_u32_e32 v3, vcc, v3, v7, vcc
	global_store_dword v[2:3], v0, off
	v_and_or_b32 v0, v5, s18, v4
	v_cmp_ne_u32_e32 vcc, 0, v0
	v_cndmask_b32_e64 v0, 0, 1, vcc
	v_lshrrev_b32_e32 v4, 8, v5
	v_bfe_u32 v7, v5, 20, 11
	v_and_or_b32 v4, v4, s17, v0
	v_sub_u32_e32 v8, 0x3f1, v7
	v_or_b32_e32 v0, 0x1000, v4
	v_med3_i32 v8, v8, 0, 13
	v_lshrrev_b32_e32 v13, v8, v0
	v_lshlrev_b32_e32 v8, v8, v13
	v_mul_f16_sdwa v1, v1, v9 dst_sel:DWORD dst_unused:UNUSED_PAD src0_sel:DWORD src1_sel:WORD_1
	v_cmp_ne_u32_e32 vcc, v8, v0
	v_fma_f16 v1, v9, v11, -v1
	v_cndmask_b32_e64 v0, 0, 1, vcc
	v_add_u32_e32 v7, 0xfffffc10, v7
	v_cvt_f32_f16_e32 v1, v1
	v_or_b32_e32 v0, v13, v0
	v_lshl_or_b32 v8, v7, 12, v4
	v_cmp_gt_i32_e32 vcc, 1, v7
	v_cndmask_b32_e32 v0, v8, v0, vcc
	v_and_b32_e32 v8, 7, v0
	v_cmp_lt_i32_e32 vcc, 5, v8
	v_cmp_eq_u32_e64 s[0:1], 3, v8
	v_lshrrev_b32_e32 v8, 2, v0
	v_cvt_f64_f32_e32 v[0:1], v1
	s_or_b64 vcc, s[0:1], vcc
	v_addc_co_u32_e32 v8, vcc, 0, v8, vcc
	v_mul_f64 v[0:1], v[0:1], s[14:15]
	v_cmp_gt_i32_e32 vcc, 31, v7
	v_cndmask_b32_e32 v8, v6, v8, vcc
	v_cmp_ne_u32_e32 vcc, 0, v4
	v_cndmask_b32_e64 v4, 0, 1, vcc
	v_lshl_or_b32 v4, v4, 9, v6
	v_cmp_eq_u32_e32 vcc, s16, v7
	v_cndmask_b32_e32 v4, v8, v4, vcc
	v_and_or_b32 v0, v1, s18, v0
	v_lshrrev_b32_e32 v5, 16, v5
	v_cmp_ne_u32_e32 vcc, 0, v0
	v_and_or_b32 v7, v5, s10, v4
	v_cndmask_b32_e64 v0, 0, 1, vcc
	v_lshrrev_b32_e32 v4, 8, v1
	v_bfe_u32 v5, v1, 20, 11
	v_and_or_b32 v0, v4, s17, v0
	v_sub_u32_e32 v8, 0x3f1, v5
	v_or_b32_e32 v4, 0x1000, v0
	v_med3_i32 v8, v8, 0, 13
	v_lshrrev_b32_e32 v9, v8, v4
	v_lshlrev_b32_e32 v8, v8, v9
	v_cmp_ne_u32_e32 vcc, v8, v4
	v_cndmask_b32_e64 v4, 0, 1, vcc
	v_add_u32_e32 v5, 0xfffffc10, v5
	v_or_b32_e32 v4, v9, v4
	v_lshl_or_b32 v8, v5, 12, v0
	v_cmp_gt_i32_e32 vcc, 1, v5
	v_cndmask_b32_e32 v4, v8, v4, vcc
	v_and_b32_e32 v8, 7, v4
	v_cmp_lt_i32_e32 vcc, 5, v8
	v_cmp_eq_u32_e64 s[0:1], 3, v8
	v_lshrrev_b32_e32 v8, 16, v10
	v_lshrrev_b32_e32 v4, 2, v4
	s_or_b64 vcc, s[0:1], vcc
	s_waitcnt vmcnt(1)
	v_mul_f16_sdwa v9, v8, v12 dst_sel:DWORD dst_unused:UNUSED_PAD src0_sel:DWORD src1_sel:WORD_1
	v_addc_co_u32_e32 v4, vcc, 0, v4, vcc
	v_fma_f16 v9, v10, v12, v9
	v_cmp_gt_i32_e32 vcc, 31, v5
	v_cvt_f32_f16_e32 v9, v9
	v_cndmask_b32_e32 v4, v6, v4, vcc
	v_cmp_ne_u32_e32 vcc, 0, v0
	v_cndmask_b32_e64 v0, 0, 1, vcc
	v_lshl_or_b32 v0, v0, 9, v6
	v_cmp_eq_u32_e32 vcc, s16, v5
	v_cndmask_b32_e32 v0, v4, v0, vcc
	v_cvt_f64_f32_e32 v[4:5], v9
	v_lshrrev_b32_e32 v1, 16, v1
	v_and_or_b32 v9, v1, s10, v0
	v_add_co_u32_e32 v2, vcc, s3, v2
	v_mul_f64 v[0:1], v[4:5], s[14:15]
	v_mov_b32_e32 v5, s2
	v_and_b32_e32 v7, 0xffff, v7
	v_addc_co_u32_e32 v3, vcc, v3, v5, vcc
	v_lshl_or_b32 v4, v9, 16, v7
	global_store_dword v[2:3], v4, off
	v_and_or_b32 v0, v1, s18, v0
	v_cmp_ne_u32_e32 vcc, 0, v0
	v_cndmask_b32_e64 v0, 0, 1, vcc
	v_lshrrev_b32_e32 v4, 8, v1
	v_bfe_u32 v5, v1, 20, 11
	v_and_or_b32 v0, v4, s17, v0
	v_sub_u32_e32 v7, 0x3f1, v5
	v_or_b32_e32 v4, 0x1000, v0
	v_med3_i32 v7, v7, 0, 13
	v_lshrrev_b32_e32 v9, v7, v4
	v_lshlrev_b32_e32 v7, v7, v9
	v_cmp_ne_u32_e32 vcc, v7, v4
	v_cndmask_b32_e64 v4, 0, 1, vcc
	v_or_b32_e32 v4, v9, v4
	v_mul_f16_sdwa v9, v10, v12 dst_sel:DWORD dst_unused:UNUSED_PAD src0_sel:DWORD src1_sel:WORD_1
	v_fma_f16 v8, v12, v8, -v9
	v_add_u32_e32 v7, 0xfffffc10, v5
	v_cvt_f32_f16_e32 v8, v8
	v_lshl_or_b32 v5, v7, 12, v0
	v_cmp_gt_i32_e32 vcc, 1, v7
	v_cndmask_b32_e32 v4, v5, v4, vcc
	v_and_b32_e32 v5, 7, v4
	v_cmp_lt_i32_e32 vcc, 5, v5
	v_cmp_eq_u32_e64 s[0:1], 3, v5
	v_lshrrev_b32_e32 v9, 2, v4
	v_cvt_f64_f32_e32 v[4:5], v8
	s_or_b64 vcc, s[0:1], vcc
	v_addc_co_u32_e32 v8, vcc, 0, v9, vcc
	v_mul_f64 v[4:5], v[4:5], s[14:15]
	v_cmp_gt_i32_e32 vcc, 31, v7
	v_cndmask_b32_e32 v8, v6, v8, vcc
	v_cmp_ne_u32_e32 vcc, 0, v0
	v_cndmask_b32_e64 v0, 0, 1, vcc
	v_lshl_or_b32 v0, v0, 9, v6
	v_cmp_eq_u32_e32 vcc, s16, v7
	v_cndmask_b32_e32 v0, v8, v0, vcc
	v_lshrrev_b32_e32 v1, 16, v1
	v_and_or_b32 v0, v1, s10, v0
	v_and_or_b32 v1, v5, s18, v4
	v_cmp_ne_u32_e32 vcc, 0, v1
	v_cndmask_b32_e64 v1, 0, 1, vcc
	v_lshrrev_b32_e32 v4, 8, v5
	v_bfe_u32 v7, v5, 20, 11
	v_and_or_b32 v1, v4, s17, v1
	v_sub_u32_e32 v8, 0x3f1, v7
	v_or_b32_e32 v4, 0x1000, v1
	v_med3_i32 v8, v8, 0, 13
	v_lshrrev_b32_e32 v9, v8, v4
	v_lshlrev_b32_e32 v8, v8, v9
	v_cmp_ne_u32_e32 vcc, v8, v4
	v_cndmask_b32_e64 v4, 0, 1, vcc
	v_add_u32_e32 v7, 0xfffffc10, v7
	v_or_b32_e32 v4, v9, v4
	v_lshl_or_b32 v8, v7, 12, v1
	v_cmp_gt_i32_e32 vcc, 1, v7
	v_cndmask_b32_e32 v4, v8, v4, vcc
	v_and_b32_e32 v8, 7, v4
	v_cmp_lt_i32_e32 vcc, 5, v8
	v_cmp_eq_u32_e64 s[0:1], 3, v8
	v_lshrrev_b32_e32 v4, 2, v4
	s_or_b64 vcc, s[0:1], vcc
	v_addc_co_u32_e32 v4, vcc, 0, v4, vcc
	v_cmp_gt_i32_e32 vcc, 31, v7
	v_cndmask_b32_e32 v4, v6, v4, vcc
	v_cmp_ne_u32_e32 vcc, 0, v1
	v_cndmask_b32_e64 v1, 0, 1, vcc
	v_lshl_or_b32 v1, v1, 9, v6
	v_cmp_eq_u32_e32 vcc, s16, v7
	v_cndmask_b32_e32 v1, v4, v1, vcc
	v_lshrrev_b32_e32 v4, 16, v5
	v_and_or_b32 v1, v4, s10, v1
	v_and_b32_e32 v0, 0xffff, v0
	v_lshl_or_b32 v4, v1, 16, v0
	v_mov_b32_e32 v1, s2
	v_add_co_u32_e32 v0, vcc, s3, v2
	v_addc_co_u32_e32 v1, vcc, v3, v1, vcc
	global_store_dword v[0:1], v4, off
.LBB0_23:
	s_endpgm
	.section	.rodata,"a",@progbits
	.p2align	6, 0x0
	.amdhsa_kernel bluestein_single_back_len280_dim1_half_op_CI_CI
		.amdhsa_group_segment_fixed_size 1120
		.amdhsa_private_segment_fixed_size 0
		.amdhsa_kernarg_size 104
		.amdhsa_user_sgpr_count 6
		.amdhsa_user_sgpr_private_segment_buffer 1
		.amdhsa_user_sgpr_dispatch_ptr 0
		.amdhsa_user_sgpr_queue_ptr 0
		.amdhsa_user_sgpr_kernarg_segment_ptr 1
		.amdhsa_user_sgpr_dispatch_id 0
		.amdhsa_user_sgpr_flat_scratch_init 0
		.amdhsa_user_sgpr_private_segment_size 0
		.amdhsa_uses_dynamic_stack 0
		.amdhsa_system_sgpr_private_segment_wavefront_offset 0
		.amdhsa_system_sgpr_workgroup_id_x 1
		.amdhsa_system_sgpr_workgroup_id_y 0
		.amdhsa_system_sgpr_workgroup_id_z 0
		.amdhsa_system_sgpr_workgroup_info 0
		.amdhsa_system_vgpr_workitem_id 0
		.amdhsa_next_free_vgpr 58
		.amdhsa_next_free_sgpr 20
		.amdhsa_reserve_vcc 1
		.amdhsa_reserve_flat_scratch 0
		.amdhsa_float_round_mode_32 0
		.amdhsa_float_round_mode_16_64 0
		.amdhsa_float_denorm_mode_32 3
		.amdhsa_float_denorm_mode_16_64 3
		.amdhsa_dx10_clamp 1
		.amdhsa_ieee_mode 1
		.amdhsa_fp16_overflow 0
		.amdhsa_exception_fp_ieee_invalid_op 0
		.amdhsa_exception_fp_denorm_src 0
		.amdhsa_exception_fp_ieee_div_zero 0
		.amdhsa_exception_fp_ieee_overflow 0
		.amdhsa_exception_fp_ieee_underflow 0
		.amdhsa_exception_fp_ieee_inexact 0
		.amdhsa_exception_int_div_zero 0
	.end_amdhsa_kernel
	.text
.Lfunc_end0:
	.size	bluestein_single_back_len280_dim1_half_op_CI_CI, .Lfunc_end0-bluestein_single_back_len280_dim1_half_op_CI_CI
                                        ; -- End function
	.section	.AMDGPU.csdata,"",@progbits
; Kernel info:
; codeLenInByte = 9880
; NumSgprs: 24
; NumVgprs: 58
; ScratchSize: 0
; MemoryBound: 0
; FloatMode: 240
; IeeeMode: 1
; LDSByteSize: 1120 bytes/workgroup (compile time only)
; SGPRBlocks: 2
; VGPRBlocks: 14
; NumSGPRsForWavesPerEU: 24
; NumVGPRsForWavesPerEU: 58
; Occupancy: 4
; WaveLimiterHint : 1
; COMPUTE_PGM_RSRC2:SCRATCH_EN: 0
; COMPUTE_PGM_RSRC2:USER_SGPR: 6
; COMPUTE_PGM_RSRC2:TRAP_HANDLER: 0
; COMPUTE_PGM_RSRC2:TGID_X_EN: 1
; COMPUTE_PGM_RSRC2:TGID_Y_EN: 0
; COMPUTE_PGM_RSRC2:TGID_Z_EN: 0
; COMPUTE_PGM_RSRC2:TIDIG_COMP_CNT: 0
	.type	__hip_cuid_8d269c5db75f1fbe,@object ; @__hip_cuid_8d269c5db75f1fbe
	.section	.bss,"aw",@nobits
	.globl	__hip_cuid_8d269c5db75f1fbe
__hip_cuid_8d269c5db75f1fbe:
	.byte	0                               ; 0x0
	.size	__hip_cuid_8d269c5db75f1fbe, 1

	.ident	"AMD clang version 19.0.0git (https://github.com/RadeonOpenCompute/llvm-project roc-6.4.0 25133 c7fe45cf4b819c5991fe208aaa96edf142730f1d)"
	.section	".note.GNU-stack","",@progbits
	.addrsig
	.addrsig_sym __hip_cuid_8d269c5db75f1fbe
	.amdgpu_metadata
---
amdhsa.kernels:
  - .args:
      - .actual_access:  read_only
        .address_space:  global
        .offset:         0
        .size:           8
        .value_kind:     global_buffer
      - .actual_access:  read_only
        .address_space:  global
        .offset:         8
        .size:           8
        .value_kind:     global_buffer
      - .actual_access:  read_only
        .address_space:  global
        .offset:         16
        .size:           8
        .value_kind:     global_buffer
      - .actual_access:  read_only
        .address_space:  global
        .offset:         24
        .size:           8
        .value_kind:     global_buffer
      - .actual_access:  read_only
        .address_space:  global
        .offset:         32
        .size:           8
        .value_kind:     global_buffer
      - .offset:         40
        .size:           8
        .value_kind:     by_value
      - .address_space:  global
        .offset:         48
        .size:           8
        .value_kind:     global_buffer
      - .address_space:  global
        .offset:         56
        .size:           8
        .value_kind:     global_buffer
      - .address_space:  global
        .offset:         64
        .size:           8
        .value_kind:     global_buffer
      - .address_space:  global
        .offset:         72
        .size:           8
        .value_kind:     global_buffer
      - .offset:         80
        .size:           4
        .value_kind:     by_value
      - .address_space:  global
        .offset:         88
        .size:           8
        .value_kind:     global_buffer
      - .address_space:  global
        .offset:         96
        .size:           8
        .value_kind:     global_buffer
    .group_segment_fixed_size: 1120
    .kernarg_segment_align: 8
    .kernarg_segment_size: 104
    .language:       OpenCL C
    .language_version:
      - 2
      - 0
    .max_flat_workgroup_size: 56
    .name:           bluestein_single_back_len280_dim1_half_op_CI_CI
    .private_segment_fixed_size: 0
    .sgpr_count:     24
    .sgpr_spill_count: 0
    .symbol:         bluestein_single_back_len280_dim1_half_op_CI_CI.kd
    .uniform_work_group_size: 1
    .uses_dynamic_stack: false
    .vgpr_count:     58
    .vgpr_spill_count: 0
    .wavefront_size: 64
amdhsa.target:   amdgcn-amd-amdhsa--gfx906
amdhsa.version:
  - 1
  - 2
...

	.end_amdgpu_metadata
